;; amdgpu-corpus repo=ROCm/aiter kind=harvested arch=n/a opt=n/a

/root/src/amdgpu-assembly/repos/ROCm__aiter/hsa/gfx950/fmoe_2stages/fmoe_stage1_bf16_pertokenFp8_g1u1_128x64_pf2.co:	file format elf64-amdgpu

Disassembly of section .text:

0000000000002a00 <_ZN5aiter44fmoe_stage1_bf16_pertokenFp8_g1u1_128x64_pf2E>:
	s_and_b32 s1, s1, 0xffff                                   // 000000002A00: 8601FF01 0000FFFF
	s_load_dwordx2 s[8:9], s[0:1], 0x0                         // 000000002A08: C0060200 00000000
	s_load_dwordx2 s[20:21], s[0:1], 0x10                      // 000000002A10: C0060500 00000010
	s_load_dwordx2 s[24:25], s[0:1], 0x20                      // 000000002A18: C0060600 00000020
	s_load_dwordx2 s[48:49], s[0:1], 0x30                      // 000000002A20: C0060C00 00000030
	s_load_dwordx2 s[28:29], s[0:1], 0x40                      // 000000002A28: C0060700 00000040
	s_load_dwordx2 s[32:33], s[0:1], 0x50                      // 000000002A30: C0060800 00000050
	s_load_dwordx2 s[36:37], s[0:1], 0x60                      // 000000002A38: C0060900 00000060
	s_load_dwordx2 s[12:13], s[0:1], 0x70                      // 000000002A40: C0060300 00000070
	s_load_dwordx2 s[44:45], s[0:1], 0x80                      // 000000002A48: C0060B00 00000080
	s_mov_b32 s89, 0                                           // 000000002A50: BED90080
	s_load_dword s64, s[0:1], 0x90                             // 000000002A54: C0021000 00000090
	s_load_dword s65, s[0:1], 0xa0                             // 000000002A5C: C0021040 000000A0
	s_load_dword s66, s[0:1], 0xb0                             // 000000002A64: C0021080 000000B0
	s_load_dword s67, s[0:1], 0xc0                             // 000000002A6C: C00210C0 000000C0
	s_load_dword s68, s[0:1], 0xd0                             // 000000002A74: C0021100 000000D0
	s_load_dword s69, s[0:1], 0xe0                             // 000000002A7C: C0021140 000000E0
	s_load_dword s71, s[0:1], 0xf0                             // 000000002A84: C00211C0 000000F0
	s_load_dword s72, s[0:1], 0x100                            // 000000002A8C: C0021200 00000100
	s_load_dword s74, s[0:1], 0x110                            // 000000002A94: C0021280 00000110
	s_load_dword s76, s[0:1], 0x120                            // 000000002A9C: C0021300 00000120
	s_load_dword s56, s[0:1], 0x130                            // 000000002AA4: C0020E00 00000130
	s_load_dword s88, s[0:1], 0x140                            // 000000002AAC: C0021600 00000140
	s_load_dword s89, s[0:1], 0x150                            // 000000002AB4: C0021640 00000150
	v_lshrrev_b32_e32 v1, 10, v0                               // 000000002ABC: 2002008A
	v_lshrrev_b32_e32 v2, 10, v1                               // 000000002AC0: 2004028A
	v_and_b32_e32 v2, 0x3ff, v2                                // 000000002AC4: 260404FF 000003FF
	v_and_b32_e32 v1, 0x3ff, v1                                // 000000002ACC: 260202FF 000003FF
	v_and_b32_e32 v0, 0x3ff, v0                                // 000000002AD4: 260000FF 000003FF
	v_lshrrev_b32_e32 v3, 6, v0                                // 000000002ADC: 20060086
	v_and_b32_e32 v0, 63, v0                                   // 000000002AE0: 260000BF
	s_mov_b32 s2, s2                                           // 000000002AE4: BE820002
	s_mov_b32 s3, s3                                           // 000000002AE8: BE830003
	s_mov_b32 s4, s4                                           // 000000002AEC: BE840004
	v_readfirstlane_b32 s7, v3                                 // 000000002AF0: 7E0E0503
	s_waitcnt lgkmcnt(0)                                       // 000000002AF4: BF8CC07F
	s_and_b32 s49, s49, 0xffff                                 // 000000002AF8: 8631FF31 0000FFFF
	s_load_dword s48, s[48:49], 0x0                            // 000000002B00: C0020C18 00000000
	s_and_b32 s45, s45, 0xffff                                 // 000000002B08: 862DFF2D 0000FFFF
	s_and_b32 s9, s9, 0xffff                                   // 000000002B10: 8609FF09 0000FFFF
	s_mul_i32 s60, s66, s68                                    // 000000002B18: 923C4442
	s_mul_i32 s61, s66, 4                                      // 000000002B1C: 923D8442
	s_mov_b32 s22, s60                                         // 000000002B20: BE96003C
	s_mov_b32 s26, -16                                         // 000000002B24: BE9A00D0
	s_mov_b32 s30, s61                                         // 000000002B28: BE9E003D
	s_mov_b32 s14, 0x200                                       // 000000002B2C: BE8E00FF 00000200
	s_mov_b32 s38, -16                                         // 000000002B34: BEA600D0
	s_mov_b32 s10, -16                                         // 000000002B38: BE8A00D0
	s_mov_b32 s34, 0x100                                       // 000000002B3C: BEA200FF 00000100
	s_mov_b32 s23, 0x20000                                     // 000000002B44: BE9700FF 00020000
	s_mov_b32 s27, 0x20000                                     // 000000002B4C: BE9B00FF 00020000
	s_mov_b32 s31, 0x20000                                     // 000000002B54: BE9F00FF 00020000
	s_mov_b32 s35, 0x20000                                     // 000000002B5C: BEA300FF 00020000
	s_mov_b32 s15, 0x20000                                     // 000000002B64: BE8F00FF 00020000
	s_mov_b32 s39, 0x20000                                     // 000000002B6C: BEA700FF 00020000
	s_mov_b32 s11, 0x20000                                     // 000000002B74: BE8B00FF 00020000
	s_and_b32 s21, s21, 0xffff                                 // 000000002B7C: 8615FF15 0000FFFF
	s_and_b32 s25, s25, 0xffff                                 // 000000002B84: 8619FF19 0000FFFF
	s_and_b32 s29, s29, 0xffff                                 // 000000002B8C: 861DFF1D 0000FFFF
	s_and_b32 s33, s33, 0xffff                                 // 000000002B94: 8621FF21 0000FFFF
	s_and_b32 s13, s13, 0xffff                                 // 000000002B9C: 860DFF0D 0000FFFF
	s_and_b32 s37, s37, 0xffff                                 // 000000002BA4: 8625FF25 0000FFFF
	s_or_b32 s21, s21, 0x40000                                 // 000000002BAC: 8715FF15 00040000
	s_or_b32 s25, s25, 0x40000                                 // 000000002BB4: 8719FF19 00040000
	s_or_b32 s29, s29, 0x40000                                 // 000000002BBC: 871DFF1D 00040000
	s_or_b32 s33, s33, 0x40000                                 // 000000002BC4: 8721FF21 00040000
	s_or_b32 s13, s13, 0x40000                                 // 000000002BCC: 870DFF0D 00040000
	s_or_b32 s37, s37, 0x40000                                 // 000000002BD4: 8725FF25 00040000
	v_accvgpr_write_b32 a143, 0                                // 000000002BDC: D3D9408F 18000080
	v_mov_b32_e32 v143, 0                                      // 000000002BE4: 7F1E0280
	s_waitcnt lgkmcnt(0)                                       // 000000002BE8: BF8CC07F
	s_mul_i32 s60, s3, 0x80                                    // 000000002BEC: 923CFF03 00000080
	s_cmp_lt_i32 s60, s48                                      // 000000002BF4: BF04303C
	s_cbranch_scc0 label_2263                                  // 000000002BF8: BF8421E1
	s_mov_b32 s80, 0                                           // 000000002BFC: BED00080
	s_lshr_b32 s81, s64, s88                                   // 000000002C00: 8F515840
	s_mul_i32 s60, s3, 4                                       // 000000002C04: 923C8403
	s_add_u32 s44, s60, s44                                    // 000000002C08: 802C2C3C
	s_addc_u32 s45, 0, s45                                     // 000000002C0C: 822D2D80
	s_load_dword s5, s[44:45], 0x0                             // 000000002C10: C0020156 00000000
	s_mul_i32 s60, s3, 0x80                                    // 000000002C18: 923CFF03 00000080
	s_mul_i32 s60, 4, s60                                      // 000000002C20: 923C3C84
	s_add_u32 s12, s60, s12                                    // 000000002C24: 800C0C3C
	s_addc_u32 s13, 0, s13                                     // 000000002C28: 820D0D80
	v_and_b32_e32 v4, 15, v0                                   // 000000002C2C: 2608008F
	v_lshlrev_b32_e32 v4, 2, v4                                // 000000002C30: 24080882
	buffer_load_dword v28, v4, s[12:15], 0 offen               // 000000002C34: E0501000 80031C04
	v_add_u32_e32 v4, 64, v4                                   // 000000002C3C: 680808C0
	buffer_load_dword v29, v4, s[12:15], 0 offen               // 000000002C40: E0501000 80031D04
	v_add_u32_e32 v4, 64, v4                                   // 000000002C48: 680808C0
	buffer_load_dword v30, v4, s[12:15], 0 offen               // 000000002C4C: E0501000 80031E04
	v_add_u32_e32 v4, 64, v4                                   // 000000002C54: 680808C0
	buffer_load_dword v31, v4, s[12:15], 0 offen               // 000000002C58: E0501000 80031F04
	v_add_u32_e32 v4, 64, v4                                   // 000000002C60: 680808C0
	buffer_load_dword v32, v4, s[12:15], 0 offen               // 000000002C64: E0501000 80032004
	v_add_u32_e32 v4, 64, v4                                   // 000000002C6C: 680808C0
	buffer_load_dword v33, v4, s[12:15], 0 offen               // 000000002C70: E0501000 80032104
	v_add_u32_e32 v4, 64, v4                                   // 000000002C78: 680808C0
	buffer_load_dword v34, v4, s[12:15], 0 offen               // 000000002C7C: E0501000 80032204
	v_add_u32_e32 v4, 64, v4                                   // 000000002C84: 680808C0
	buffer_load_dword v35, v4, s[12:15], 0 offen               // 000000002C88: E0501000 80032304
	v_add_u32_e32 v4, 64, v4                                   // 000000002C90: 680808C0
	s_mul_i32 s60, 4, s7                                       // 000000002C94: 923C0784
	v_lshlrev_b32_e32 v4, 4, v0                                // 000000002C98: 24080084
	v_add_u32_e32 v4, s60, v4                                  // 000000002C9C: 6808083C
	buffer_load_dword v3, v4, s[12:15], 0 offen                // 000000002CA0: E0501000 80030304
	v_mov_b32_e32 v80, 0                                       // 000000002CA8: 7EA00280
	v_mov_b32_e32 v112, 0                                      // 000000002CAC: 7EE00280
	v_mov_b32_e32 v81, 0                                       // 000000002CB0: 7EA20280
	v_mov_b32_e32 v113, 0                                      // 000000002CB4: 7EE20280
	v_mov_b32_e32 v82, 0                                       // 000000002CB8: 7EA40280
	v_mov_b32_e32 v114, 0                                      // 000000002CBC: 7EE40280
	v_mov_b32_e32 v83, 0                                       // 000000002CC0: 7EA60280
	v_mov_b32_e32 v115, 0                                      // 000000002CC4: 7EE60280
	v_mov_b32_e32 v84, 0                                       // 000000002CC8: 7EA80280
	v_mov_b32_e32 v116, 0                                      // 000000002CCC: 7EE80280
	v_mov_b32_e32 v85, 0                                       // 000000002CD0: 7EAA0280
	v_mov_b32_e32 v117, 0                                      // 000000002CD4: 7EEA0280
	v_mov_b32_e32 v86, 0                                       // 000000002CD8: 7EAC0280
	v_mov_b32_e32 v118, 0                                      // 000000002CDC: 7EEC0280
	v_mov_b32_e32 v87, 0                                       // 000000002CE0: 7EAE0280
	v_mov_b32_e32 v119, 0                                      // 000000002CE4: 7EEE0280
	v_mov_b32_e32 v88, 0                                       // 000000002CE8: 7EB00280
	v_mov_b32_e32 v120, 0                                      // 000000002CEC: 7EF00280
	v_mov_b32_e32 v89, 0                                       // 000000002CF0: 7EB20280
	v_mov_b32_e32 v121, 0                                      // 000000002CF4: 7EF20280
	v_mov_b32_e32 v90, 0                                       // 000000002CF8: 7EB40280
	v_mov_b32_e32 v122, 0                                      // 000000002CFC: 7EF40280
	v_mov_b32_e32 v91, 0                                       // 000000002D00: 7EB60280
	v_mov_b32_e32 v123, 0                                      // 000000002D04: 7EF60280
	v_mov_b32_e32 v92, 0                                       // 000000002D08: 7EB80280
	v_mov_b32_e32 v124, 0                                      // 000000002D0C: 7EF80280
	v_mov_b32_e32 v93, 0                                       // 000000002D10: 7EBA0280
	v_mov_b32_e32 v125, 0                                      // 000000002D14: 7EFA0280
	v_mov_b32_e32 v94, 0                                       // 000000002D18: 7EBC0280
	v_mov_b32_e32 v126, 0                                      // 000000002D1C: 7EFC0280
	v_mov_b32_e32 v95, 0                                       // 000000002D20: 7EBE0280
	v_mov_b32_e32 v127, 0                                      // 000000002D24: 7EFE0280
	v_mov_b32_e32 v96, 0                                       // 000000002D28: 7EC00280
	v_mov_b32_e32 v128, 0                                      // 000000002D2C: 7F000280
	v_mov_b32_e32 v97, 0                                       // 000000002D30: 7EC20280
	v_mov_b32_e32 v129, 0                                      // 000000002D34: 7F020280
	v_mov_b32_e32 v98, 0                                       // 000000002D38: 7EC40280
	v_mov_b32_e32 v130, 0                                      // 000000002D3C: 7F040280
	v_mov_b32_e32 v99, 0                                       // 000000002D40: 7EC60280
	v_mov_b32_e32 v131, 0                                      // 000000002D44: 7F060280
	v_mov_b32_e32 v100, 0                                      // 000000002D48: 7EC80280
	v_mov_b32_e32 v132, 0                                      // 000000002D4C: 7F080280
	v_mov_b32_e32 v101, 0                                      // 000000002D50: 7ECA0280
	v_mov_b32_e32 v133, 0                                      // 000000002D54: 7F0A0280
	v_mov_b32_e32 v102, 0                                      // 000000002D58: 7ECC0280
	v_mov_b32_e32 v134, 0                                      // 000000002D5C: 7F0C0280
	v_mov_b32_e32 v103, 0                                      // 000000002D60: 7ECE0280
	v_mov_b32_e32 v135, 0                                      // 000000002D64: 7F0E0280
	v_mov_b32_e32 v104, 0                                      // 000000002D68: 7ED00280
	v_mov_b32_e32 v136, 0                                      // 000000002D6C: 7F100280
	v_mov_b32_e32 v105, 0                                      // 000000002D70: 7ED20280
	v_mov_b32_e32 v137, 0                                      // 000000002D74: 7F120280
	v_mov_b32_e32 v106, 0                                      // 000000002D78: 7ED40280
	v_mov_b32_e32 v138, 0                                      // 000000002D7C: 7F140280
	v_mov_b32_e32 v107, 0                                      // 000000002D80: 7ED60280
	v_mov_b32_e32 v139, 0                                      // 000000002D84: 7F160280
	v_mov_b32_e32 v108, 0                                      // 000000002D88: 7ED80280
	v_mov_b32_e32 v140, 0                                      // 000000002D8C: 7F180280
	v_mov_b32_e32 v109, 0                                      // 000000002D90: 7EDA0280
	v_mov_b32_e32 v141, 0                                      // 000000002D94: 7F1A0280
	v_mov_b32_e32 v110, 0                                      // 000000002D98: 7EDC0280
	v_mov_b32_e32 v142, 0                                      // 000000002D9C: 7F1C0280
	v_mov_b32_e32 v111, 0                                      // 000000002DA0: 7EDE0280
	v_mov_b32_e32 v143, 0                                      // 000000002DA4: 7F1E0280
	s_mul_i32 s60, s2, 0x80                                    // 000000002DA8: 923CFF02 00000080
	s_cmp_eq_u32 s88, 0                                        // 000000002DB0: BF068058
	s_cselect_b32 s61, 1, 2                                    // 000000002DB4: 853D8281
	s_mul_i32 s60, s60, s61                                    // 000000002DB8: 923C3D3C
	s_mov_b32 s90, s8                                          // 000000002DBC: BEDA0008
	s_mov_b32 s91, s9                                          // 000000002DC0: BEDB0009
	s_add_u32 s8, s60, s8                                      // 000000002DC4: 8008083C
	s_addc_u32 s9, 0, s9                                       // 000000002DC8: 82090980
	v_lshrrev_b32_e32 v4, 4, v0                                // 000000002DCC: 20080084
	v_mul_lo_u32 v20, 34, v4                                   // 000000002DD0: D2850014 000208A2
	v_and_b32_e32 v4, 15, v0                                   // 000000002DD8: 2608008F
	v_mul_lo_u32 v5, 2, v4                                     // 000000002DDC: D2850005 00020882
	v_add_u32_e32 v20, v5, v20                                 // 000000002DE4: 68282905
	s_mul_i32 s60, s7, 0x88                                    // 000000002DE8: 923CFF07 00000088
	v_add_u32_e32 v20, s60, v20                                // 000000002DF0: 6828283C
	v_lshlrev_b32_e32 v20, 2, v20                              // 000000002DF4: 24282882
	v_and_b32_e32 v4, 31, v0                                   // 000000002DF8: 2608009F
	v_lshrrev_b32_e32 v4, 1, v4                                // 000000002DFC: 20080881
	v_mul_lo_u32 v21, 34, v4                                   // 000000002E00: D2850015 000208A2
	v_lshrrev_b32_e32 v4, 5, v0                                // 000000002E08: 20080085
	v_mul_lo_u32 v4, 8, v4                                     // 000000002E0C: D2850004 00020888
	v_add_u32_e32 v21, v21, v4                                 // 000000002E14: 682A0915
	v_and_b32_e32 v5, 1, v0                                    // 000000002E18: 260A0081
	v_add_u32_e32 v21, v5, v21                                 // 000000002E1C: 682A2B05
	s_mul_i32 s60, s7, 2                                       // 000000002E20: 923C8207
	v_add_u32_e32 v21, s60, v21                                // 000000002E24: 682A2A3C
	v_lshlrev_b32_e32 v21, 2, v21                              // 000000002E28: 242A2A82
	s_mul_i32 s60, s7, 0x1020                                  // 000000002E2C: 923CFF07 00001020
	s_add_u32 s48, 0, s60                                      // 000000002E34: 80303C80
	s_add_u32 s49, 0x4080, s48                                 // 000000002E38: 803130FF 00004080
	v_lshrrev_b32_e32 v4, 4, v0                                // 000000002E40: 20080084
	v_lshlrev_b32_e32 v5, 2, v4                                // 000000002E44: 240A0882
	v_and_b32_e32 v4, 15, v0                                   // 000000002E48: 2608008F
	v_lshrrev_b32_e32 v6, 2, v4                                // 000000002E4C: 200C0882
	v_lshlrev_b32_e32 v6, 5, v6                                // 000000002E50: 240C0C85
	v_add_u32_e32 v5, v6, v5                                   // 000000002E54: 680A0B06
	v_and_b32_e32 v4, 3, v0                                    // 000000002E58: 26080083
	v_mul_u32_u24_e32 v6, 0x408, v4                            // 000000002E5C: 100C08FF 00000408
	v_add_u32_e32 v5, v6, v5                                   // 000000002E64: 680A0B06
	v_lshlrev_b32_e32 v2, 2, v5                                // 000000002E68: 24040A82
	s_waitcnt lgkmcnt(0)                                       // 000000002E6C: BF8CC07F
	s_mul_i32 s60, s2, 64                                      // 000000002E70: 923CC002
	s_mul_i32 s60, s60, s69                                    // 000000002E74: 923C453C
	s_mul_i32 s61, s5, s72                                     // 000000002E78: 923D4805
	s_add_u32 s60, s61, s60                                    // 000000002E7C: 803C3C3D
	s_add_u32 s24, s60, s24                                    // 000000002E80: 8018183C
	s_addc_u32 s25, 0, s25                                     // 000000002E84: 82191980
	s_lshr_b32 s60, s64, s88                                   // 000000002E88: 8F3C5840
	s_mul_i32 s60, s4, s60                                     // 000000002E8C: 923C3C04
	s_lshr_b32 s60, s60, 7                                     // 000000002E90: 8F3C873C
	s_mul_i32 s60, s60, 0x800                                  // 000000002E94: 923CFF3C 00000800
	s_add_u32 s24, s60, s24                                    // 000000002E9C: 8018183C
	s_addc_u32 s25, 0, s25                                     // 000000002EA0: 82191980
	s_lshr_b32 s60, s69, s88                                   // 000000002EA4: 8F3C5845
	s_mul_i32 s60, s4, s60                                     // 000000002EA8: 923C3C04
	s_add_u32 s20, s60, s20                                    // 000000002EAC: 8014143C
	s_addc_u32 s21, 0, s21                                     // 000000002EB0: 82151580
	s_mul_i32 s60, s7, 16                                      // 000000002EB4: 923C9007
	s_mul_i32 s60, s60, s69                                    // 000000002EB8: 923C453C
	v_lshlrev_b32_e32 v76, 4, v0                               // 000000002EBC: 24980084
	v_add_u32_e32 v76, s60, v76                                // 000000002EC0: 6898983C
	s_mul_i32 s60, 64, s69                                     // 000000002EC4: 923C45C0
	s_mov_b32 s84, s24                                         // 000000002EC8: BED40018
	s_mov_b32 s85, s25                                         // 000000002ECC: BED50019
	s_mov_b32 s86, s26                                         // 000000002ED0: BED6001A
	s_mov_b32 s87, s27                                         // 000000002ED4: BED7001B
	s_mul_i32 s60, s69, s65                                    // 000000002ED8: 923C4145
	s_add_u32 s84, s60, s84                                    // 000000002EDC: 8054543C
	s_addc_u32 s85, 0, s85                                     // 000000002EE0: 82555580
	v_lshrrev_b32_e32 v4, 4, v0                                // 000000002EE4: 20080084
	v_lshlrev_b32_e32 v5, 2, v4                                // 000000002EE8: 240A0882
	v_and_b32_e32 v4, 15, v0                                   // 000000002EEC: 2608008F
	v_lshrrev_b32_e32 v6, 2, v4                                // 000000002EF0: 200C0882
	v_lshlrev_b32_e32 v6, 6, v6                                // 000000002EF4: 240C0C86
	v_add_u32_e32 v5, v6, v5                                   // 000000002EF8: 680A0B06
	v_and_b32_e32 v4, 3, v0                                    // 000000002EFC: 26080083
	v_add_u32_e32 v5, v4, v5                                   // 000000002F00: 680A0B04
	v_lshlrev_b32_e32 v22, 2, v5                               // 000000002F04: 242C0A82
	s_mul_i32 s60, s7, 16                                      // 000000002F08: 923C9007
	s_mul_i32 s60, s60, 4                                      // 000000002F0C: 923C843C
	v_add_u32_e32 v22, s60, v22                                // 000000002F10: 682C2C3C
	s_mul_i32 s60, s2, 64                                      // 000000002F14: 923CC002
	s_mul_i32 s60, s60, 4                                      // 000000002F18: 923C843C
	s_mul_i32 s61, s5, s74                                     // 000000002F1C: 923D4A05
	s_add_u32 s61, s61, s60                                    // 000000002F20: 803D3C3D
	s_add_u32 s32, s61, s32                                    // 000000002F24: 8020203D
	s_addc_u32 s33, 0, s33                                     // 000000002F28: 82212180
	s_mov_b32 s57, 0x80                                        // 000000002F2C: BEB900FF 00000080
	s_mov_b32 s58, 0x800                                       // 000000002F34: BEBA00FF 00000800
	s_mov_b32 s83, s58                                         // 000000002F3C: BED3003A
	s_mov_b32 s52, 0x7060302                                   // 000000002F40: BEB400FF 07060302
	s_mov_b32 s53, 0x400                                       // 000000002F48: BEB500FF 00000400
	s_mov_b32 s54, 0x40100                                     // 000000002F50: BEB600FF 00040100
	s_mov_b32 s55, 0x4020100                                   // 000000002F58: BEB700FF 04020100
	s_mov_b32 s6, 0x3fb8aa3b                                   // 000000002F60: BE8600FF 3FB8AA3B
	s_mov_b32 s78, 0xbd92220c                                  // 000000002F68: BECE00FF BD92220C
	s_mov_b32 s79, 0xbd92220c                                  // 000000002F70: BECF00FF BD92220C
	s_mov_b32 m0, s48                                          // 000000002F78: BEFC0030
	v_mov_b32_e32 v1, 0xbfcc4231                               // 000000002F7C: 7E0202FF BFCC4231
	v_mov_b32_e32 v17, 0xffff0000                              // 000000002F84: 7E2202FF FFFF0000
	v_mov_b32_e32 v18, 0x7fff0000                              // 000000002F8C: 7E2402FF 7FFF0000
	v_mov_b32_e32 v19, 0x7fff                                  // 000000002F94: 7E2602FF 00007FFF
	s_waitcnt vmcnt(0) expcnt(0) lgkmcnt(0)                    // 000000002F9C: BF8C0000
	v_lshrrev_b32_e32 v4, 5, v0                                // 000000002FA0: 20080085
	v_xor_b32_e32 v5, 1, v4                                    // 000000002FA4: 2A0A0881
	v_readlane_b32 s82, v3, 0                                  // 000000002FA8: D2890052 00010103
	s_and_b32 s82, s82, 0xffffff                               // 000000002FB0: 8652FF52 00FFFFFF
	v_mul_lo_u32 v6, v5, s82                                   // 000000002FB8: D2850006 0000A505
	v_readlane_b32 s82, v3, 1                                  // 000000002FC0: D2890052 00010303
	s_and_b32 s82, s82, 0xffffff                               // 000000002FC8: 8652FF52 00FFFFFF
	v_mul_lo_u32 v7, v4, s82                                   // 000000002FD0: D2850007 0000A504
	v_add_u32_e32 v60, v6, v7                                  // 000000002FD8: 68780F06
	v_mul_lo_u32 v60, v60, s68                                 // 000000002FDC: D285003C 0000893C
	v_readlane_b32 s82, v3, 2                                  // 000000002FE4: D2890052 00010503
	s_and_b32 s82, s82, 0xffffff                               // 000000002FEC: 8652FF52 00FFFFFF
	v_mul_lo_u32 v6, v5, s82                                   // 000000002FF4: D2850006 0000A505
	v_readlane_b32 s82, v3, 3                                  // 000000002FFC: D2890052 00010703
	s_and_b32 s82, s82, 0xffffff                               // 000000003004: 8652FF52 00FFFFFF
	v_mul_lo_u32 v7, v4, s82                                   // 00000000300C: D2850007 0000A504
	v_add_u32_e32 v61, v6, v7                                  // 000000003014: 687A0F06
	v_mul_lo_u32 v61, v61, s68                                 // 000000003018: D285003D 0000893D
	v_readlane_b32 s82, v3, 4                                  // 000000003020: D2890052 00010903
	s_and_b32 s82, s82, 0xffffff                               // 000000003028: 8652FF52 00FFFFFF
	v_mul_lo_u32 v6, v5, s82                                   // 000000003030: D2850006 0000A505
	v_readlane_b32 s82, v3, 5                                  // 000000003038: D2890052 00010B03
	s_and_b32 s82, s82, 0xffffff                               // 000000003040: 8652FF52 00FFFFFF
	v_mul_lo_u32 v7, v4, s82                                   // 000000003048: D2850007 0000A504
	v_add_u32_e32 v62, v6, v7                                  // 000000003050: 687C0F06
	v_mul_lo_u32 v62, v62, s68                                 // 000000003054: D285003E 0000893E
	v_readlane_b32 s82, v3, 6                                  // 00000000305C: D2890052 00010D03
	s_and_b32 s82, s82, 0xffffff                               // 000000003064: 8652FF52 00FFFFFF
	v_mul_lo_u32 v6, v5, s82                                   // 00000000306C: D2850006 0000A505
	v_readlane_b32 s82, v3, 7                                  // 000000003074: D2890052 00010F03
	s_and_b32 s82, s82, 0xffffff                               // 00000000307C: 8652FF52 00FFFFFF
	v_mul_lo_u32 v7, v4, s82                                   // 000000003084: D2850007 0000A504
	v_add_u32_e32 v63, v6, v7                                  // 00000000308C: 687E0F06
	v_mul_lo_u32 v63, v63, s68                                 // 000000003090: D285003F 0000893F
	v_readlane_b32 s82, v3, 8                                  // 000000003098: D2890052 00011103
	s_and_b32 s82, s82, 0xffffff                               // 0000000030A0: 8652FF52 00FFFFFF
	v_mul_lo_u32 v6, v5, s82                                   // 0000000030A8: D2850006 0000A505
	v_readlane_b32 s82, v3, 9                                  // 0000000030B0: D2890052 00011303
	s_and_b32 s82, s82, 0xffffff                               // 0000000030B8: 8652FF52 00FFFFFF
	v_mul_lo_u32 v7, v4, s82                                   // 0000000030C0: D2850007 0000A504
	v_add_u32_e32 v64, v6, v7                                  // 0000000030C8: 68800F06
	v_mul_lo_u32 v64, v64, s68                                 // 0000000030CC: D2850040 00008940
	v_readlane_b32 s82, v3, 10                                 // 0000000030D4: D2890052 00011503
	s_and_b32 s82, s82, 0xffffff                               // 0000000030DC: 8652FF52 00FFFFFF
	v_mul_lo_u32 v6, v5, s82                                   // 0000000030E4: D2850006 0000A505
	v_readlane_b32 s82, v3, 11                                 // 0000000030EC: D2890052 00011703
	s_and_b32 s82, s82, 0xffffff                               // 0000000030F4: 8652FF52 00FFFFFF
	v_mul_lo_u32 v7, v4, s82                                   // 0000000030FC: D2850007 0000A504
	v_add_u32_e32 v65, v6, v7                                  // 000000003104: 68820F06
	v_mul_lo_u32 v65, v65, s68                                 // 000000003108: D2850041 00008941
	v_readlane_b32 s82, v3, 12                                 // 000000003110: D2890052 00011903
	s_and_b32 s82, s82, 0xffffff                               // 000000003118: 8652FF52 00FFFFFF
	v_mul_lo_u32 v6, v5, s82                                   // 000000003120: D2850006 0000A505
	v_readlane_b32 s82, v3, 13                                 // 000000003128: D2890052 00011B03
	s_and_b32 s82, s82, 0xffffff                               // 000000003130: 8652FF52 00FFFFFF
	v_mul_lo_u32 v7, v4, s82                                   // 000000003138: D2850007 0000A504
	v_add_u32_e32 v66, v6, v7                                  // 000000003140: 68840F06
	v_mul_lo_u32 v66, v66, s68                                 // 000000003144: D2850042 00008942
	v_readlane_b32 s82, v3, 14                                 // 00000000314C: D2890052 00011D03
	s_and_b32 s82, s82, 0xffffff                               // 000000003154: 8652FF52 00FFFFFF
	v_mul_lo_u32 v6, v5, s82                                   // 00000000315C: D2850006 0000A505
	v_readlane_b32 s82, v3, 15                                 // 000000003164: D2890052 00011F03
	s_and_b32 s82, s82, 0xffffff                               // 00000000316C: 8652FF52 00FFFFFF
	v_mul_lo_u32 v7, v4, s82                                   // 000000003174: D2850007 0000A504
	v_add_u32_e32 v67, v6, v7                                  // 00000000317C: 68860F06
	v_mul_lo_u32 v67, v67, s68                                 // 000000003180: D2850043 00008943
	v_readlane_b32 s82, v3, 16                                 // 000000003188: D2890052 00012103
	s_and_b32 s82, s82, 0xffffff                               // 000000003190: 8652FF52 00FFFFFF
	v_mul_lo_u32 v6, v5, s82                                   // 000000003198: D2850006 0000A505
	v_readlane_b32 s82, v3, 17                                 // 0000000031A0: D2890052 00012303
	s_and_b32 s82, s82, 0xffffff                               // 0000000031A8: 8652FF52 00FFFFFF
	v_mul_lo_u32 v7, v4, s82                                   // 0000000031B0: D2850007 0000A504
	v_add_u32_e32 v68, v6, v7                                  // 0000000031B8: 68880F06
	v_mul_lo_u32 v68, v68, s68                                 // 0000000031BC: D2850044 00008944
	v_readlane_b32 s82, v3, 18                                 // 0000000031C4: D2890052 00012503
	s_and_b32 s82, s82, 0xffffff                               // 0000000031CC: 8652FF52 00FFFFFF
	v_mul_lo_u32 v6, v5, s82                                   // 0000000031D4: D2850006 0000A505
	v_readlane_b32 s82, v3, 19                                 // 0000000031DC: D2890052 00012703
	s_and_b32 s82, s82, 0xffffff                               // 0000000031E4: 8652FF52 00FFFFFF
	v_mul_lo_u32 v7, v4, s82                                   // 0000000031EC: D2850007 0000A504
	v_add_u32_e32 v69, v6, v7                                  // 0000000031F4: 688A0F06
	v_mul_lo_u32 v69, v69, s68                                 // 0000000031F8: D2850045 00008945
	v_readlane_b32 s82, v3, 20                                 // 000000003200: D2890052 00012903
	s_and_b32 s82, s82, 0xffffff                               // 000000003208: 8652FF52 00FFFFFF
	v_mul_lo_u32 v6, v5, s82                                   // 000000003210: D2850006 0000A505
	v_readlane_b32 s82, v3, 21                                 // 000000003218: D2890052 00012B03
	s_and_b32 s82, s82, 0xffffff                               // 000000003220: 8652FF52 00FFFFFF
	v_mul_lo_u32 v7, v4, s82                                   // 000000003228: D2850007 0000A504
	v_add_u32_e32 v70, v6, v7                                  // 000000003230: 688C0F06
	v_mul_lo_u32 v70, v70, s68                                 // 000000003234: D2850046 00008946
	v_readlane_b32 s82, v3, 22                                 // 00000000323C: D2890052 00012D03
	s_and_b32 s82, s82, 0xffffff                               // 000000003244: 8652FF52 00FFFFFF
	v_mul_lo_u32 v6, v5, s82                                   // 00000000324C: D2850006 0000A505
	v_readlane_b32 s82, v3, 23                                 // 000000003254: D2890052 00012F03
	s_and_b32 s82, s82, 0xffffff                               // 00000000325C: 8652FF52 00FFFFFF
	v_mul_lo_u32 v7, v4, s82                                   // 000000003264: D2850007 0000A504
	v_add_u32_e32 v71, v6, v7                                  // 00000000326C: 688E0F06
	v_mul_lo_u32 v71, v71, s68                                 // 000000003270: D2850047 00008947
	v_readlane_b32 s82, v3, 24                                 // 000000003278: D2890052 00013103
	s_and_b32 s82, s82, 0xffffff                               // 000000003280: 8652FF52 00FFFFFF
	v_mul_lo_u32 v6, v5, s82                                   // 000000003288: D2850006 0000A505
	v_readlane_b32 s82, v3, 25                                 // 000000003290: D2890052 00013303
	s_and_b32 s82, s82, 0xffffff                               // 000000003298: 8652FF52 00FFFFFF
	v_mul_lo_u32 v7, v4, s82                                   // 0000000032A0: D2850007 0000A504
	v_add_u32_e32 v72, v6, v7                                  // 0000000032A8: 68900F06
	v_mul_lo_u32 v72, v72, s68                                 // 0000000032AC: D2850048 00008948
	v_readlane_b32 s82, v3, 26                                 // 0000000032B4: D2890052 00013503
	s_and_b32 s82, s82, 0xffffff                               // 0000000032BC: 8652FF52 00FFFFFF
	v_mul_lo_u32 v6, v5, s82                                   // 0000000032C4: D2850006 0000A505
	v_readlane_b32 s82, v3, 27                                 // 0000000032CC: D2890052 00013703
	s_and_b32 s82, s82, 0xffffff                               // 0000000032D4: 8652FF52 00FFFFFF
	v_mul_lo_u32 v7, v4, s82                                   // 0000000032DC: D2850007 0000A504
	v_add_u32_e32 v73, v6, v7                                  // 0000000032E4: 68920F06
	v_mul_lo_u32 v73, v73, s68                                 // 0000000032E8: D2850049 00008949
	v_readlane_b32 s82, v3, 28                                 // 0000000032F0: D2890052 00013903
	s_and_b32 s82, s82, 0xffffff                               // 0000000032F8: 8652FF52 00FFFFFF
	v_mul_lo_u32 v6, v5, s82                                   // 000000003300: D2850006 0000A505
	v_readlane_b32 s82, v3, 29                                 // 000000003308: D2890052 00013B03
	s_and_b32 s82, s82, 0xffffff                               // 000000003310: 8652FF52 00FFFFFF
	v_mul_lo_u32 v7, v4, s82                                   // 000000003318: D2850007 0000A504
	v_add_u32_e32 v74, v6, v7                                  // 000000003320: 68940F06
	v_mul_lo_u32 v74, v74, s68                                 // 000000003324: D285004A 0000894A
	v_readlane_b32 s82, v3, 30                                 // 00000000332C: D2890052 00013D03
	s_and_b32 s82, s82, 0xffffff                               // 000000003334: 8652FF52 00FFFFFF
	v_mul_lo_u32 v6, v5, s82                                   // 00000000333C: D2850006 0000A505
	v_readlane_b32 s82, v3, 31                                 // 000000003344: D2890052 00013F03
	s_and_b32 s82, s82, 0xffffff                               // 00000000334C: 8652FF52 00FFFFFF
	v_mul_lo_u32 v7, v4, s82                                   // 000000003354: D2850007 0000A504
	v_add_u32_e32 v75, v6, v7                                  // 00000000335C: 68960F06
	v_mul_lo_u32 v75, v75, s68                                 // 000000003360: D285004B 0000894B
	v_and_b32_e32 v4, 31, v0                                   // 000000003368: 2608009F
	v_lshlrev_b32_e32 v4, 2, v4                                // 00000000336C: 24080882
	v_add_u32_e32 v60, v60, v4                                 // 000000003370: 6878093C
	v_add_u32_e32 v61, v61, v4                                 // 000000003374: 687A093D
	v_add_u32_e32 v62, v62, v4                                 // 000000003378: 687C093E
	v_add_u32_e32 v63, v63, v4                                 // 00000000337C: 687E093F
	v_add_u32_e32 v64, v64, v4                                 // 000000003380: 68800940
	v_add_u32_e32 v65, v65, v4                                 // 000000003384: 68820941
	;; [unrolled: 1-line block ×3, first 2 shown]
	v_add_u32_e32 v67, v67, v4                                 // 00000000338C: 68860943
	v_add_u32_e32 v68, v68, v4                                 // 000000003390: 68880944
	v_add_u32_e32 v69, v69, v4                                 // 000000003394: 688A0945
	v_add_u32_e32 v70, v70, v4                                 // 000000003398: 688C0946
	v_add_u32_e32 v71, v71, v4                                 // 00000000339C: 688E0947
	v_add_u32_e32 v72, v72, v4                                 // 0000000033A0: 68900948
	v_add_u32_e32 v73, v73, v4                                 // 0000000033A4: 68920949
	v_add_u32_e32 v74, v74, v4                                 // 0000000033A8: 6894094A
	v_add_u32_e32 v75, v75, v4                                 // 0000000033AC: 6896094B
	v_and_b32_e32 v28, 0xffffff, v28                           // 0000000033B0: 263838FF 00FFFFFF
	v_lshlrev_b32_e32 v28, 2, v28                              // 0000000033B8: 24383882
	v_and_b32_e32 v29, 0xffffff, v29                           // 0000000033BC: 263A3AFF 00FFFFFF
	v_lshlrev_b32_e32 v29, 2, v29                              // 0000000033C4: 243A3A82
	v_and_b32_e32 v30, 0xffffff, v30                           // 0000000033C8: 263C3CFF 00FFFFFF
	v_lshlrev_b32_e32 v30, 2, v30                              // 0000000033D0: 243C3C82
	v_and_b32_e32 v31, 0xffffff, v31                           // 0000000033D4: 263E3EFF 00FFFFFF
	v_lshlrev_b32_e32 v31, 2, v31                              // 0000000033DC: 243E3E82
	v_and_b32_e32 v32, 0xffffff, v32                           // 0000000033E0: 264040FF 00FFFFFF
	v_lshlrev_b32_e32 v32, 2, v32                              // 0000000033E8: 24404082
	v_and_b32_e32 v33, 0xffffff, v33                           // 0000000033EC: 264242FF 00FFFFFF
	v_lshlrev_b32_e32 v33, 2, v33                              // 0000000033F4: 24424282
	v_and_b32_e32 v34, 0xffffff, v34                           // 0000000033F8: 264444FF 00FFFFFF
	v_lshlrev_b32_e32 v34, 2, v34                              // 000000003400: 24444482
	v_and_b32_e32 v35, 0xffffff, v35                           // 000000003404: 264646FF 00FFFFFF
	v_lshlrev_b32_e32 v35, 2, v35                              // 00000000340C: 24464682
	s_lshl_b32 s3, s66, 2                                      // 000000003410: 8E038242
	buffer_load_dword v36, v28, s[28:31], 0 offen              // 000000003414: E0501000 8007241C
	buffer_load_dword v37, v29, s[28:31], 0 offen              // 00000000341C: E0501000 8007251D
	buffer_load_dword v38, v30, s[28:31], 0 offen              // 000000003424: E0501000 8007261E
	buffer_load_dword v39, v31, s[28:31], 0 offen              // 00000000342C: E0501000 8007271F
	buffer_load_dword v40, v32, s[28:31], 0 offen              // 000000003434: E0501000 80072820
	buffer_load_dword v41, v33, s[28:31], 0 offen              // 00000000343C: E0501000 80072921
	buffer_load_dword v42, v34, s[28:31], 0 offen              // 000000003444: E0501000 80072A22
	buffer_load_dword v43, v35, s[28:31], 0 offen              // 00000000344C: E0501000 80072B23
	buffer_load_dword v24, v22, s[32:35], 0 offen              // 000000003454: E0501000 80081816
	s_mul_i32 s60, 4, s65                                      // 00000000345C: 923C4184
	s_add_u32 s32, s60, s32                                    // 000000003460: 8020203C
	s_addc_u32 s33, 0, s33                                     // 000000003464: 82212180
	buffer_load_dword v26, v22, s[32:35], 0 offen              // 000000003468: E0501000 80081A16
	buffer_load_dword v60, s[20:23], 0 offen lds               // 000000003470: E0511000 8005003C
	s_add_u32 m0, 0x100, s48                                   // 000000003478: 807C30FF 00000100
	buffer_load_dword v61, s[20:23], 0 offen lds               // 000000003480: E0511000 8005003D
	s_add_u32 m0, 0x200, s48                                   // 000000003488: 807C30FF 00000200
	buffer_load_dword v62, s[20:23], 0 offen lds               // 000000003490: E0511000 8005003E
	s_add_u32 m0, 0x300, s48                                   // 000000003498: 807C30FF 00000300
	buffer_load_dword v63, s[20:23], 0 offen lds               // 0000000034A0: E0511000 8005003F
	s_add_u32 m0, 0x400, s48                                   // 0000000034A8: 807C30FF 00000400
	buffer_load_dword v64, s[20:23], 0 offen lds               // 0000000034B0: E0511000 80050040
	s_add_u32 m0, 0x500, s48                                   // 0000000034B8: 807C30FF 00000500
	buffer_load_dword v65, s[20:23], 0 offen lds               // 0000000034C0: E0511000 80050041
	s_add_u32 m0, 0x600, s48                                   // 0000000034C8: 807C30FF 00000600
	buffer_load_dword v66, s[20:23], 0 offen lds               // 0000000034D0: E0511000 80050042
	s_add_u32 m0, 0x700, s48                                   // 0000000034D8: 807C30FF 00000700
	buffer_load_dword v67, s[20:23], 0 offen lds               // 0000000034E0: E0511000 80050043
	s_add_u32 m0, 0x800, s48                                   // 0000000034E8: 807C30FF 00000800
	buffer_load_dword v68, s[20:23], 0 offen lds               // 0000000034F0: E0511000 80050044
	s_add_u32 m0, 0x900, s48                                   // 0000000034F8: 807C30FF 00000900
	buffer_load_dword v69, s[20:23], 0 offen lds               // 000000003500: E0511000 80050045
	s_add_u32 m0, 0xa00, s48                                   // 000000003508: 807C30FF 00000A00
	buffer_load_dword v70, s[20:23], 0 offen lds               // 000000003510: E0511000 80050046
	s_add_u32 m0, 0xb00, s48                                   // 000000003518: 807C30FF 00000B00
	buffer_load_dword v71, s[20:23], 0 offen lds               // 000000003520: E0511000 80050047
	s_add_u32 m0, 0xc00, s48                                   // 000000003528: 807C30FF 00000C00
	buffer_load_dword v72, s[20:23], 0 offen lds               // 000000003530: E0511000 80050048
	s_add_u32 m0, 0xd00, s48                                   // 000000003538: 807C30FF 00000D00
	buffer_load_dword v73, s[20:23], 0 offen lds               // 000000003540: E0511000 80050049
	s_add_u32 m0, 0xe00, s48                                   // 000000003548: 807C30FF 00000E00
	buffer_load_dword v74, s[20:23], 0 offen lds               // 000000003550: E0511000 8005004A
	s_add_u32 m0, 0xf00, s48                                   // 000000003558: 807C30FF 00000F00
	buffer_load_dword v75, s[20:23], 0 offen lds               // 000000003560: E0511000 8005004B
	s_add_u32 m0, 0, s49                                       // 000000003568: 807C3180
	s_add_u32 s20, s57, s20                                    // 00000000356C: 80141439
	s_addc_u32 s21, 0, s21                                     // 000000003570: 82151580
	buffer_load_dword v60, s[20:23], 0 offen lds               // 000000003574: E0511000 8005003C
	s_add_u32 m0, 0x100, s49                                   // 00000000357C: 807C31FF 00000100
	buffer_load_dword v61, s[20:23], 0 offen lds               // 000000003584: E0511000 8005003D
	s_add_u32 m0, 0x200, s49                                   // 00000000358C: 807C31FF 00000200
	buffer_load_dword v62, s[20:23], 0 offen lds               // 000000003594: E0511000 8005003E
	s_add_u32 m0, 0x300, s49                                   // 00000000359C: 807C31FF 00000300
	buffer_load_dword v63, s[20:23], 0 offen lds               // 0000000035A4: E0511000 8005003F
	s_add_u32 m0, 0x400, s49                                   // 0000000035AC: 807C31FF 00000400
	buffer_load_dword v64, s[20:23], 0 offen lds               // 0000000035B4: E0511000 80050040
	s_add_u32 m0, 0x500, s49                                   // 0000000035BC: 807C31FF 00000500
	buffer_load_dword v65, s[20:23], 0 offen lds               // 0000000035C4: E0511000 80050041
	s_add_u32 m0, 0x600, s49                                   // 0000000035CC: 807C31FF 00000600
	buffer_load_dword v66, s[20:23], 0 offen lds               // 0000000035D4: E0511000 80050042
	s_add_u32 m0, 0x700, s49                                   // 0000000035DC: 807C31FF 00000700
	buffer_load_dword v67, s[20:23], 0 offen lds               // 0000000035E4: E0511000 80050043
	s_add_u32 m0, 0x800, s49                                   // 0000000035EC: 807C31FF 00000800
	buffer_load_dword v68, s[20:23], 0 offen lds               // 0000000035F4: E0511000 80050044
	s_add_u32 m0, 0x900, s49                                   // 0000000035FC: 807C31FF 00000900
	buffer_load_dword v69, s[20:23], 0 offen lds               // 000000003604: E0511000 80050045
	s_add_u32 m0, 0xa00, s49                                   // 00000000360C: 807C31FF 00000A00
	buffer_load_dword v70, s[20:23], 0 offen lds               // 000000003614: E0511000 80050046
	s_add_u32 m0, 0xb00, s49                                   // 00000000361C: 807C31FF 00000B00
	buffer_load_dword v71, s[20:23], 0 offen lds               // 000000003624: E0511000 80050047
	s_add_u32 m0, 0xc00, s49                                   // 00000000362C: 807C31FF 00000C00
	buffer_load_dword v72, s[20:23], 0 offen lds               // 000000003634: E0511000 80050048
	s_add_u32 m0, 0xd00, s49                                   // 00000000363C: 807C31FF 00000D00
	buffer_load_dword v73, s[20:23], 0 offen lds               // 000000003644: E0511000 80050049
	s_add_u32 m0, 0xe00, s49                                   // 00000000364C: 807C31FF 00000E00
	buffer_load_dword v74, s[20:23], 0 offen lds               // 000000003654: E0511000 8005004A
	s_add_u32 m0, 0xf00, s49                                   // 00000000365C: 807C31FF 00000F00
	buffer_load_dword v75, s[20:23], 0 offen lds               // 000000003664: E0511000 8005004B
	s_add_u32 m0, 0, s48                                       // 00000000366C: 807C3080
	s_add_u32 s20, s57, s20                                    // 000000003670: 80141439
	s_addc_u32 s21, 0, s21                                     // 000000003674: 82151580
	buffer_load_dwordx4 a[128:131], v76, s[24:27], 0 offen     // 000000003678: E05C1000 8086804C
	buffer_load_dwordx4 a[132:135], v76, s[24:27], 0 offen offset:1024// 000000003680: E05C1400 8086844C
	s_add_u32 s24, s58, s24                                    // 000000003688: 8018183A
	s_addc_u32 s25, 0, s25                                     // 00000000368C: 82191980
	s_waitcnt vmcnt(18)                                        // 000000003690: BF8C4F72
	s_barrier                                                  // 000000003694: BF8A0000
	ds_read_b128 a[0:3], v2                                    // 000000003698: DBFE0000 00000002
	ds_read_b128 a[4:7], v2 offset:64                          // 0000000036A0: DBFE0040 04000002
	ds_read_b128 a[8:11], v2 offset:512                        // 0000000036A8: DBFE0200 08000002
	ds_read_b128 a[12:15], v2 offset:576                       // 0000000036B0: DBFE0240 0C000002
	ds_read_b128 a[16:19], v2 offset:1024                      // 0000000036B8: DBFE0400 10000002
	ds_read_b128 a[20:23], v2 offset:1088                      // 0000000036C0: DBFE0440 14000002
	ds_read_b128 a[24:27], v2 offset:1536                      // 0000000036C8: DBFE0600 18000002
	ds_read_b128 a[28:31], v2 offset:1600                      // 0000000036D0: DBFE0640 1C000002
	ds_read_b128 a[32:35], v2 offset:2048                      // 0000000036D8: DBFE0800 20000002
	ds_read_b128 a[36:39], v2 offset:2112                      // 0000000036E0: DBFE0840 24000002
	ds_read_b128 a[40:43], v2 offset:2560                      // 0000000036E8: DBFE0A00 28000002
	ds_read_b128 a[44:47], v2 offset:2624                      // 0000000036F0: DBFE0A40 2C000002
	ds_read_b128 a[48:51], v2 offset:3072                      // 0000000036F8: DBFE0C00 30000002
	ds_read_b128 a[52:55], v2 offset:3136                      // 000000003700: DBFE0C40 34000002
	ds_read_b128 a[56:59], v2 offset:3584                      // 000000003708: DBFE0E00 38000002
	ds_read_b128 a[60:63], v2 offset:3648                      // 000000003710: DBFE0E40 3C000002
	s_cmp_lt_i32 s7, 2                                         // 000000003718: BF048207
	s_cbranch_scc0 label_12D7                                  // 00000000371C: BF840F8C

0000000000003720 <label_0348>:
	s_waitcnt vmcnt(0) lgkmcnt(0)                              // 000000003720: BF8C0070
	s_barrier                                                  // 000000003724: BF8A0000
	v_mfma_f32_16x16x32_fp8_fp8 v[80:83], a[128:129], a[0:1], v[80:83]// 000000003728: D3F30050 1D420180
	v_mfma_f32_16x16x32_fp8_fp8 v[80:83], a[130:131], a[2:3], v[80:83]// 000000003730: D3F30050 1D420582
	buffer_load_dwordx4 a[136:139], v76, s[84:87], 0 offen     // 000000003738: E05C1000 8095884C
	v_mfma_f32_16x16x32_fp8_fp8 v[80:83], a[132:133], a[4:5], v[80:83]// 000000003740: D3F30050 1D420984
	v_mfma_f32_16x16x32_fp8_fp8 v[80:83], a[134:135], a[6:7], v[80:83]// 000000003748: D3F30050 1D420D86
	v_mfma_f32_16x16x32_fp8_fp8 v[84:87], a[128:129], a[8:9], v[84:87]// 000000003750: D3F30054 1D521180
	v_mfma_f32_16x16x32_fp8_fp8 v[84:87], a[130:131], a[10:11], v[84:87]// 000000003758: D3F30054 1D521582
	buffer_load_dwordx4 a[140:143], v76, s[84:87], 0 offen offset:1024// 000000003760: E05C1400 80958C4C
	buffer_load_dword v60, s[20:23], 0 offen lds               // 000000003768: E0511000 8005003C
	s_add_u32 m0, 0x100, s48                                   // 000000003770: 807C30FF 00000100
	v_mfma_f32_16x16x32_fp8_fp8 v[84:87], a[132:133], a[12:13], v[84:87]// 000000003778: D3F30054 1D521984
	v_mfma_f32_16x16x32_fp8_fp8 v[84:87], a[134:135], a[14:15], v[84:87]// 000000003780: D3F30054 1D521D86
	buffer_load_dword v61, s[20:23], 0 offen lds               // 000000003788: E0511000 8005003D
	s_add_u32 m0, 0x200, s48                                   // 000000003790: 807C30FF 00000200
	v_mfma_f32_16x16x32_fp8_fp8 v[88:91], a[128:129], a[16:17], v[88:91]// 000000003798: D3F30058 1D622180
	v_mfma_f32_16x16x32_fp8_fp8 v[88:91], a[130:131], a[18:19], v[88:91]// 0000000037A0: D3F30058 1D622582
	buffer_load_dword v62, s[20:23], 0 offen lds               // 0000000037A8: E0511000 8005003E
	s_add_u32 m0, 0x300, s48                                   // 0000000037B0: 807C30FF 00000300
	v_mfma_f32_16x16x32_fp8_fp8 v[88:91], a[132:133], a[20:21], v[88:91]// 0000000037B8: D3F30058 1D622984
	v_mfma_f32_16x16x32_fp8_fp8 v[88:91], a[134:135], a[22:23], v[88:91]// 0000000037C0: D3F30058 1D622D86
	buffer_load_dword v63, s[20:23], 0 offen lds               // 0000000037C8: E0511000 8005003F
	s_add_u32 m0, 0x400, s48                                   // 0000000037D0: 807C30FF 00000400
	v_mfma_f32_16x16x32_fp8_fp8 v[92:95], a[128:129], a[24:25], v[92:95]// 0000000037D8: D3F3005C 1D723180
	v_mfma_f32_16x16x32_fp8_fp8 v[92:95], a[130:131], a[26:27], v[92:95]// 0000000037E0: D3F3005C 1D723582
	buffer_load_dword v64, s[20:23], 0 offen lds               // 0000000037E8: E0511000 80050040
	s_add_u32 m0, 0x500, s48                                   // 0000000037F0: 807C30FF 00000500
	v_mfma_f32_16x16x32_fp8_fp8 v[92:95], a[132:133], a[28:29], v[92:95]// 0000000037F8: D3F3005C 1D723984
	v_mfma_f32_16x16x32_fp8_fp8 v[92:95], a[134:135], a[30:31], v[92:95]// 000000003800: D3F3005C 1D723D86
	buffer_load_dword v65, s[20:23], 0 offen lds               // 000000003808: E0511000 80050041
	s_add_u32 m0, 0x600, s48                                   // 000000003810: 807C30FF 00000600
	v_mfma_f32_16x16x32_fp8_fp8 v[96:99], a[128:129], a[32:33], v[96:99]// 000000003818: D3F30060 1D824180
	v_mfma_f32_16x16x32_fp8_fp8 v[96:99], a[130:131], a[34:35], v[96:99]// 000000003820: D3F30060 1D824582
	v_mfma_f32_16x16x32_fp8_fp8 v[96:99], a[132:133], a[36:37], v[96:99]// 000000003828: D3F30060 1D824984
	v_mfma_f32_16x16x32_fp8_fp8 v[96:99], a[134:135], a[38:39], v[96:99]// 000000003830: D3F30060 1D824D86
	v_mfma_f32_16x16x32_fp8_fp8 v[100:103], a[128:129], a[40:41], v[100:103]// 000000003838: D3F30064 1D925180
	v_mfma_f32_16x16x32_fp8_fp8 v[100:103], a[130:131], a[42:43], v[100:103]// 000000003840: D3F30064 1D925582
	buffer_load_dword v66, s[20:23], 0 offen lds               // 000000003848: E0511000 80050042
	s_add_u32 m0, 0x700, s48                                   // 000000003850: 807C30FF 00000700
	v_mfma_f32_16x16x32_fp8_fp8 v[100:103], a[132:133], a[44:45], v[100:103]// 000000003858: D3F30064 1D925984
	v_mfma_f32_16x16x32_fp8_fp8 v[100:103], a[134:135], a[46:47], v[100:103]// 000000003860: D3F30064 1D925D86
	buffer_load_dword v67, s[20:23], 0 offen lds               // 000000003868: E0511000 80050043
	s_add_u32 m0, 0x800, s48                                   // 000000003870: 807C30FF 00000800
	v_mfma_f32_16x16x32_fp8_fp8 v[104:107], a[128:129], a[48:49], v[104:107]// 000000003878: D3F30068 1DA26180
	v_mfma_f32_16x16x32_fp8_fp8 v[104:107], a[130:131], a[50:51], v[104:107]// 000000003880: D3F30068 1DA26582
	v_mfma_f32_16x16x32_fp8_fp8 v[104:107], a[132:133], a[52:53], v[104:107]// 000000003888: D3F30068 1DA26984
	v_mfma_f32_16x16x32_fp8_fp8 v[104:107], a[134:135], a[54:55], v[104:107]// 000000003890: D3F30068 1DA26D86
	v_mfma_f32_16x16x32_fp8_fp8 v[108:111], a[128:129], a[56:57], v[108:111]// 000000003898: D3F3006C 1DB27180
	v_mfma_f32_16x16x32_fp8_fp8 v[108:111], a[130:131], a[58:59], v[108:111]// 0000000038A0: D3F3006C 1DB27582
	buffer_load_dword v68, s[20:23], 0 offen lds               // 0000000038A8: E0511000 80050044
	s_add_u32 m0, 0x900, s48                                   // 0000000038B0: 807C30FF 00000900
	s_add_u32 s60, 0x80, s80                                   // 0000000038B8: 803C50FF 00000080
	s_cmp_lt_u32 s60, s81                                      // 0000000038C0: BF0A513C
	s_cselect_b32 s83, s83, 0                                  // 0000000038C4: 85538053
	v_mfma_f32_16x16x32_fp8_fp8 v[108:111], a[132:133], a[60:61], v[108:111]// 0000000038C8: D3F3006C 1DB27984
	v_mfma_f32_16x16x32_fp8_fp8 v[108:111], a[134:135], a[62:63], v[108:111]// 0000000038D0: D3F3006C 1DB27D86
	buffer_load_dword v69, s[20:23], 0 offen lds               // 0000000038D8: E0511000 80050045
	s_add_u32 m0, 0xa00, s48                                   // 0000000038E0: 807C30FF 00000A00
	buffer_load_dword v70, s[20:23], 0 offen lds               // 0000000038E8: E0511000 80050046
	s_add_u32 m0, 0xb00, s48                                   // 0000000038F0: 807C30FF 00000B00
	buffer_load_dword v71, s[20:23], 0 offen lds               // 0000000038F8: E0511000 80050047
	s_add_u32 m0, 0xc00, s48                                   // 000000003900: 807C30FF 00000C00
	buffer_load_dword v72, s[20:23], 0 offen lds               // 000000003908: E0511000 80050048
	s_add_u32 m0, 0xd00, s48                                   // 000000003910: 807C30FF 00000D00
	buffer_load_dword v73, s[20:23], 0 offen lds               // 000000003918: E0511000 80050049
	s_add_u32 m0, 0xe00, s48                                   // 000000003920: 807C30FF 00000E00
	buffer_load_dword v74, s[20:23], 0 offen lds               // 000000003928: E0511000 8005004A
	s_add_u32 m0, 0xf00, s48                                   // 000000003930: 807C30FF 00000F00
	buffer_load_dword v75, s[20:23], 0 offen lds               // 000000003938: E0511000 8005004B
	s_add_u32 m0, 0, s49                                       // 000000003940: 807C3180
	s_waitcnt vmcnt(16)                                        // 000000003944: BF8C4F70
	v_mfma_f32_16x16x32_fp8_fp8 v[112:115], a[136:137], a[0:1], v[112:115]// 000000003948: D3F30070 1DC20188
	v_mfma_f32_16x16x32_fp8_fp8 v[112:115], a[138:139], a[2:3], v[112:115]// 000000003950: D3F30070 1DC2058A
	buffer_load_dwordx4 a[128:131], v76, s[24:27], 0 offen     // 000000003958: E05C1000 8086804C
	v_mfma_f32_16x16x32_fp8_fp8 v[112:115], a[140:141], a[4:5], v[112:115]// 000000003960: D3F30070 1DC2098C
	v_mfma_f32_16x16x32_fp8_fp8 v[112:115], a[142:143], a[6:7], v[112:115]// 000000003968: D3F30070 1DC20D8E
	ds_read_b128 a[64:67], v2 offset:16512                     // 000000003970: DBFE4080 40000002
	ds_read_b128 a[68:71], v2 offset:16576                     // 000000003978: DBFE40C0 44000002
	v_mfma_f32_16x16x32_fp8_fp8 v[116:119], a[136:137], a[8:9], v[116:119]// 000000003980: D3F30074 1DD21188
	v_mfma_f32_16x16x32_fp8_fp8 v[116:119], a[138:139], a[10:11], v[116:119]// 000000003988: D3F30074 1DD2158A
	buffer_load_dwordx4 a[132:135], v76, s[24:27], 0 offen offset:1024// 000000003990: E05C1400 8086844C
	v_mfma_f32_16x16x32_fp8_fp8 v[116:119], a[140:141], a[12:13], v[116:119]// 000000003998: D3F30074 1DD2198C
	v_mfma_f32_16x16x32_fp8_fp8 v[116:119], a[142:143], a[14:15], v[116:119]// 0000000039A0: D3F30074 1DD21D8E
	ds_read_b128 a[72:75], v2 offset:17024                     // 0000000039A8: DBFE4280 48000002
	ds_read_b128 a[76:79], v2 offset:17088                     // 0000000039B0: DBFE42C0 4C000002
	v_mfma_f32_16x16x32_fp8_fp8 v[120:123], a[136:137], a[16:17], v[120:123]// 0000000039B8: D3F30078 1DE22188
	v_mfma_f32_16x16x32_fp8_fp8 v[120:123], a[138:139], a[18:19], v[120:123]// 0000000039C0: D3F30078 1DE2258A
	v_mfma_f32_16x16x32_fp8_fp8 v[120:123], a[140:141], a[20:21], v[120:123]// 0000000039C8: D3F30078 1DE2298C
	v_mfma_f32_16x16x32_fp8_fp8 v[120:123], a[142:143], a[22:23], v[120:123]// 0000000039D0: D3F30078 1DE22D8E
	ds_read_b128 a[80:83], v2 offset:17536                     // 0000000039D8: DBFE4480 50000002
	ds_read_b128 a[84:87], v2 offset:17600                     // 0000000039E0: DBFE44C0 54000002
	v_mfma_f32_16x16x32_fp8_fp8 v[124:127], a[136:137], a[24:25], v[124:127]// 0000000039E8: D3F3007C 1DF23188
	v_mfma_f32_16x16x32_fp8_fp8 v[124:127], a[138:139], a[26:27], v[124:127]// 0000000039F0: D3F3007C 1DF2358A
	v_mfma_f32_16x16x32_fp8_fp8 v[124:127], a[140:141], a[28:29], v[124:127]// 0000000039F8: D3F3007C 1DF2398C
	v_mfma_f32_16x16x32_fp8_fp8 v[124:127], a[142:143], a[30:31], v[124:127]// 000000003A00: D3F3007C 1DF23D8E
	ds_read_b128 a[88:91], v2 offset:18048                     // 000000003A08: DBFE4680 58000002
	ds_read_b128 a[92:95], v2 offset:18112                     // 000000003A10: DBFE46C0 5C000002
	v_mfma_f32_16x16x32_fp8_fp8 v[128:131], a[136:137], a[32:33], v[128:131]// 000000003A18: D3F30080 1E024188
	v_mfma_f32_16x16x32_fp8_fp8 v[128:131], a[138:139], a[34:35], v[128:131]// 000000003A20: D3F30080 1E02458A
	v_mfma_f32_16x16x32_fp8_fp8 v[128:131], a[140:141], a[36:37], v[128:131]// 000000003A28: D3F30080 1E02498C
	v_mfma_f32_16x16x32_fp8_fp8 v[128:131], a[142:143], a[38:39], v[128:131]// 000000003A30: D3F30080 1E024D8E
	ds_read_b128 a[96:99], v2 offset:18560                     // 000000003A38: DBFE4880 60000002
	ds_read_b128 a[100:103], v2 offset:18624                   // 000000003A40: DBFE48C0 64000002
	v_mfma_f32_16x16x32_fp8_fp8 v[132:135], a[136:137], a[40:41], v[132:135]// 000000003A48: D3F30084 1E125188
	v_mfma_f32_16x16x32_fp8_fp8 v[132:135], a[138:139], a[42:43], v[132:135]// 000000003A50: D3F30084 1E12558A
	v_mfma_f32_16x16x32_fp8_fp8 v[132:135], a[140:141], a[44:45], v[132:135]// 000000003A58: D3F30084 1E12598C
	v_mfma_f32_16x16x32_fp8_fp8 v[132:135], a[142:143], a[46:47], v[132:135]// 000000003A60: D3F30084 1E125D8E
	ds_read_b128 a[104:107], v2 offset:19072                   // 000000003A68: DBFE4A80 68000002
	ds_read_b128 a[108:111], v2 offset:19136                   // 000000003A70: DBFE4AC0 6C000002
	v_mfma_f32_16x16x32_fp8_fp8 v[136:139], a[136:137], a[48:49], v[136:139]// 000000003A78: D3F30088 1E226188
	v_mfma_f32_16x16x32_fp8_fp8 v[136:139], a[138:139], a[50:51], v[136:139]// 000000003A80: D3F30088 1E22658A
	v_mfma_f32_16x16x32_fp8_fp8 v[136:139], a[140:141], a[52:53], v[136:139]// 000000003A88: D3F30088 1E22698C
	s_add_u32 s60, 0x180, s80                                  // 000000003A90: 803C50FF 00000180
	s_cmp_lt_u32 s60, s81                                      // 000000003A98: BF0A513C
	s_cselect_b32 s57, s57, 0                                  // 000000003A9C: 85398039
	v_mfma_f32_16x16x32_fp8_fp8 v[136:139], a[142:143], a[54:55], v[136:139]// 000000003AA0: D3F30088 1E226D8E
	ds_read_b128 a[112:115], v2 offset:19584                   // 000000003AA8: DBFE4C80 70000002
	ds_read_b128 a[116:119], v2 offset:19648                   // 000000003AB0: DBFE4CC0 74000002
	s_add_u32 s60, 0x100, s80                                  // 000000003AB8: 803C50FF 00000100
	s_cmp_lt_u32 s60, s81                                      // 000000003AC0: BF0A513C
	s_cselect_b32 s58, s58, 0                                  // 000000003AC4: 853A803A
	v_mfma_f32_16x16x32_fp8_fp8 v[140:143], a[136:137], a[56:57], v[140:143]// 000000003AC8: D3F3008C 1E327188
	s_add_u32 s24, s58, s24                                    // 000000003AD0: 8018183A
	s_addc_u32 s25, 0, s25                                     // 000000003AD4: 82191980
	v_mfma_f32_16x16x32_fp8_fp8 v[140:143], a[138:139], a[58:59], v[140:143]// 000000003AD8: D3F3008C 1E32758A
	s_add_u32 s20, s57, s20                                    // 000000003AE0: 80141439
	s_addc_u32 s21, 0, s21                                     // 000000003AE4: 82151580
	v_mfma_f32_16x16x32_fp8_fp8 v[140:143], a[140:141], a[60:61], v[140:143]// 000000003AE8: D3F3008C 1E32798C
	s_add_u32 s84, s83, s84                                    // 000000003AF0: 80545453
	s_addc_u32 s85, 0, s85                                     // 000000003AF4: 82555580
	v_mfma_f32_16x16x32_fp8_fp8 v[140:143], a[142:143], a[62:63], v[140:143]// 000000003AF8: D3F3008C 1E327D8E
	ds_read_b128 a[120:123], v2 offset:20096                   // 000000003B00: DBFE4E80 78000002
	ds_read_b128 a[124:127], v2 offset:20160                   // 000000003B08: DBFE4EC0 7C000002
	s_addk_i32 s80, 0x80                                       // 000000003B10: B7500080
	s_cmp_lt_i32 s80, s81                                      // 000000003B14: BF045150
	s_cbranch_scc0 label_0547                                  // 000000003B18: BF840100
	s_waitcnt vmcnt(0) lgkmcnt(0)                              // 000000003B1C: BF8C0070
	s_barrier                                                  // 000000003B20: BF8A0000
	v_mfma_f32_16x16x32_fp8_fp8 v[80:83], a[128:129], a[64:65], v[80:83]// 000000003B24: D3F30050 1D428180
	v_mfma_f32_16x16x32_fp8_fp8 v[80:83], a[130:131], a[66:67], v[80:83]// 000000003B2C: D3F30050 1D428582
	buffer_load_dwordx4 a[136:139], v76, s[84:87], 0 offen     // 000000003B34: E05C1000 8095884C
	v_mfma_f32_16x16x32_fp8_fp8 v[80:83], a[132:133], a[68:69], v[80:83]// 000000003B3C: D3F30050 1D428984
	v_mfma_f32_16x16x32_fp8_fp8 v[80:83], a[134:135], a[70:71], v[80:83]// 000000003B44: D3F30050 1D428D86
	v_mfma_f32_16x16x32_fp8_fp8 v[84:87], a[128:129], a[72:73], v[84:87]// 000000003B4C: D3F30054 1D529180
	v_mfma_f32_16x16x32_fp8_fp8 v[84:87], a[130:131], a[74:75], v[84:87]// 000000003B54: D3F30054 1D529582
	buffer_load_dwordx4 a[140:143], v76, s[84:87], 0 offen offset:1024// 000000003B5C: E05C1400 80958C4C
	buffer_load_dword v60, s[20:23], 0 offen lds               // 000000003B64: E0511000 8005003C
	s_add_u32 m0, 0x100, s49                                   // 000000003B6C: 807C31FF 00000100
	v_mfma_f32_16x16x32_fp8_fp8 v[84:87], a[132:133], a[76:77], v[84:87]// 000000003B74: D3F30054 1D529984
	v_mfma_f32_16x16x32_fp8_fp8 v[84:87], a[134:135], a[78:79], v[84:87]// 000000003B7C: D3F30054 1D529D86
	buffer_load_dword v61, s[20:23], 0 offen lds               // 000000003B84: E0511000 8005003D
	s_add_u32 m0, 0x200, s49                                   // 000000003B8C: 807C31FF 00000200
	v_mfma_f32_16x16x32_fp8_fp8 v[88:91], a[128:129], a[80:81], v[88:91]// 000000003B94: D3F30058 1D62A180
	v_mfma_f32_16x16x32_fp8_fp8 v[88:91], a[130:131], a[82:83], v[88:91]// 000000003B9C: D3F30058 1D62A582
	buffer_load_dword v62, s[20:23], 0 offen lds               // 000000003BA4: E0511000 8005003E
	s_add_u32 m0, 0x300, s49                                   // 000000003BAC: 807C31FF 00000300
	v_mfma_f32_16x16x32_fp8_fp8 v[88:91], a[132:133], a[84:85], v[88:91]// 000000003BB4: D3F30058 1D62A984
	v_mfma_f32_16x16x32_fp8_fp8 v[88:91], a[134:135], a[86:87], v[88:91]// 000000003BBC: D3F30058 1D62AD86
	buffer_load_dword v63, s[20:23], 0 offen lds               // 000000003BC4: E0511000 8005003F
	s_add_u32 m0, 0x400, s49                                   // 000000003BCC: 807C31FF 00000400
	v_mfma_f32_16x16x32_fp8_fp8 v[92:95], a[128:129], a[88:89], v[92:95]// 000000003BD4: D3F3005C 1D72B180
	v_mfma_f32_16x16x32_fp8_fp8 v[92:95], a[130:131], a[90:91], v[92:95]// 000000003BDC: D3F3005C 1D72B582
	buffer_load_dword v64, s[20:23], 0 offen lds               // 000000003BE4: E0511000 80050040
	s_add_u32 m0, 0x500, s49                                   // 000000003BEC: 807C31FF 00000500
	v_mfma_f32_16x16x32_fp8_fp8 v[92:95], a[132:133], a[92:93], v[92:95]// 000000003BF4: D3F3005C 1D72B984
	v_mfma_f32_16x16x32_fp8_fp8 v[92:95], a[134:135], a[94:95], v[92:95]// 000000003BFC: D3F3005C 1D72BD86
	buffer_load_dword v65, s[20:23], 0 offen lds               // 000000003C04: E0511000 80050041
	s_add_u32 m0, 0x600, s49                                   // 000000003C0C: 807C31FF 00000600
	v_mfma_f32_16x16x32_fp8_fp8 v[96:99], a[128:129], a[96:97], v[96:99]// 000000003C14: D3F30060 1D82C180
	v_mfma_f32_16x16x32_fp8_fp8 v[96:99], a[130:131], a[98:99], v[96:99]// 000000003C1C: D3F30060 1D82C582
	v_mfma_f32_16x16x32_fp8_fp8 v[96:99], a[132:133], a[100:101], v[96:99]// 000000003C24: D3F30060 1D82C984
	v_mfma_f32_16x16x32_fp8_fp8 v[96:99], a[134:135], a[102:103], v[96:99]// 000000003C2C: D3F30060 1D82CD86
	v_mfma_f32_16x16x32_fp8_fp8 v[100:103], a[128:129], a[104:105], v[100:103]// 000000003C34: D3F30064 1D92D180
	v_mfma_f32_16x16x32_fp8_fp8 v[100:103], a[130:131], a[106:107], v[100:103]// 000000003C3C: D3F30064 1D92D582
	buffer_load_dword v66, s[20:23], 0 offen lds               // 000000003C44: E0511000 80050042
	s_add_u32 m0, 0x700, s49                                   // 000000003C4C: 807C31FF 00000700
	v_mfma_f32_16x16x32_fp8_fp8 v[100:103], a[132:133], a[108:109], v[100:103]// 000000003C54: D3F30064 1D92D984
	v_mfma_f32_16x16x32_fp8_fp8 v[100:103], a[134:135], a[110:111], v[100:103]// 000000003C5C: D3F30064 1D92DD86
	buffer_load_dword v67, s[20:23], 0 offen lds               // 000000003C64: E0511000 80050043
	s_add_u32 m0, 0x800, s49                                   // 000000003C6C: 807C31FF 00000800
	v_mfma_f32_16x16x32_fp8_fp8 v[104:107], a[128:129], a[112:113], v[104:107]// 000000003C74: D3F30068 1DA2E180
	v_mfma_f32_16x16x32_fp8_fp8 v[104:107], a[130:131], a[114:115], v[104:107]// 000000003C7C: D3F30068 1DA2E582
	v_mfma_f32_16x16x32_fp8_fp8 v[104:107], a[132:133], a[116:117], v[104:107]// 000000003C84: D3F30068 1DA2E984
	v_mfma_f32_16x16x32_fp8_fp8 v[104:107], a[134:135], a[118:119], v[104:107]// 000000003C8C: D3F30068 1DA2ED86
	v_mfma_f32_16x16x32_fp8_fp8 v[108:111], a[128:129], a[120:121], v[108:111]// 000000003C94: D3F3006C 1DB2F180
	v_mfma_f32_16x16x32_fp8_fp8 v[108:111], a[130:131], a[122:123], v[108:111]// 000000003C9C: D3F3006C 1DB2F582
	buffer_load_dword v68, s[20:23], 0 offen lds               // 000000003CA4: E0511000 80050044
	s_add_u32 m0, 0x900, s49                                   // 000000003CAC: 807C31FF 00000900
	s_add_u32 s60, 0x80, s80                                   // 000000003CB4: 803C50FF 00000080
	s_cmp_lt_u32 s60, s81                                      // 000000003CBC: BF0A513C
	s_cselect_b32 s83, s83, 0                                  // 000000003CC0: 85538053
	v_mfma_f32_16x16x32_fp8_fp8 v[108:111], a[132:133], a[124:125], v[108:111]// 000000003CC4: D3F3006C 1DB2F984
	v_mfma_f32_16x16x32_fp8_fp8 v[108:111], a[134:135], a[126:127], v[108:111]// 000000003CCC: D3F3006C 1DB2FD86
	buffer_load_dword v69, s[20:23], 0 offen lds               // 000000003CD4: E0511000 80050045
	s_add_u32 m0, 0xa00, s49                                   // 000000003CDC: 807C31FF 00000A00
	buffer_load_dword v70, s[20:23], 0 offen lds               // 000000003CE4: E0511000 80050046
	s_add_u32 m0, 0xb00, s49                                   // 000000003CEC: 807C31FF 00000B00
	buffer_load_dword v71, s[20:23], 0 offen lds               // 000000003CF4: E0511000 80050047
	s_add_u32 m0, 0xc00, s49                                   // 000000003CFC: 807C31FF 00000C00
	buffer_load_dword v72, s[20:23], 0 offen lds               // 000000003D04: E0511000 80050048
	s_add_u32 m0, 0xd00, s49                                   // 000000003D0C: 807C31FF 00000D00
	buffer_load_dword v73, s[20:23], 0 offen lds               // 000000003D14: E0511000 80050049
	s_add_u32 m0, 0xe00, s49                                   // 000000003D1C: 807C31FF 00000E00
	buffer_load_dword v74, s[20:23], 0 offen lds               // 000000003D24: E0511000 8005004A
	s_add_u32 m0, 0xf00, s49                                   // 000000003D2C: 807C31FF 00000F00
	buffer_load_dword v75, s[20:23], 0 offen lds               // 000000003D34: E0511000 8005004B
	s_add_u32 m0, 0, s48                                       // 000000003D3C: 807C3080
	s_waitcnt vmcnt(16)                                        // 000000003D40: BF8C4F70
	v_mfma_f32_16x16x32_fp8_fp8 v[112:115], a[136:137], a[64:65], v[112:115]// 000000003D44: D3F30070 1DC28188
	v_mfma_f32_16x16x32_fp8_fp8 v[112:115], a[138:139], a[66:67], v[112:115]// 000000003D4C: D3F30070 1DC2858A
	buffer_load_dwordx4 a[128:131], v76, s[24:27], 0 offen     // 000000003D54: E05C1000 8086804C
	v_mfma_f32_16x16x32_fp8_fp8 v[112:115], a[140:141], a[68:69], v[112:115]// 000000003D5C: D3F30070 1DC2898C
	v_mfma_f32_16x16x32_fp8_fp8 v[112:115], a[142:143], a[70:71], v[112:115]// 000000003D64: D3F30070 1DC28D8E
	ds_read_b128 a[0:3], v2                                    // 000000003D6C: DBFE0000 00000002
	ds_read_b128 a[4:7], v2 offset:64                          // 000000003D74: DBFE0040 04000002
	v_mfma_f32_16x16x32_fp8_fp8 v[116:119], a[136:137], a[72:73], v[116:119]// 000000003D7C: D3F30074 1DD29188
	v_mfma_f32_16x16x32_fp8_fp8 v[116:119], a[138:139], a[74:75], v[116:119]// 000000003D84: D3F30074 1DD2958A
	buffer_load_dwordx4 a[132:135], v76, s[24:27], 0 offen offset:1024// 000000003D8C: E05C1400 8086844C
	v_mfma_f32_16x16x32_fp8_fp8 v[116:119], a[140:141], a[76:77], v[116:119]// 000000003D94: D3F30074 1DD2998C
	v_mfma_f32_16x16x32_fp8_fp8 v[116:119], a[142:143], a[78:79], v[116:119]// 000000003D9C: D3F30074 1DD29D8E
	ds_read_b128 a[8:11], v2 offset:512                        // 000000003DA4: DBFE0200 08000002
	ds_read_b128 a[12:15], v2 offset:576                       // 000000003DAC: DBFE0240 0C000002
	v_mfma_f32_16x16x32_fp8_fp8 v[120:123], a[136:137], a[80:81], v[120:123]// 000000003DB4: D3F30078 1DE2A188
	v_mfma_f32_16x16x32_fp8_fp8 v[120:123], a[138:139], a[82:83], v[120:123]// 000000003DBC: D3F30078 1DE2A58A
	v_mfma_f32_16x16x32_fp8_fp8 v[120:123], a[140:141], a[84:85], v[120:123]// 000000003DC4: D3F30078 1DE2A98C
	v_mfma_f32_16x16x32_fp8_fp8 v[120:123], a[142:143], a[86:87], v[120:123]// 000000003DCC: D3F30078 1DE2AD8E
	ds_read_b128 a[16:19], v2 offset:1024                      // 000000003DD4: DBFE0400 10000002
	ds_read_b128 a[20:23], v2 offset:1088                      // 000000003DDC: DBFE0440 14000002
	v_mfma_f32_16x16x32_fp8_fp8 v[124:127], a[136:137], a[88:89], v[124:127]// 000000003DE4: D3F3007C 1DF2B188
	v_mfma_f32_16x16x32_fp8_fp8 v[124:127], a[138:139], a[90:91], v[124:127]// 000000003DEC: D3F3007C 1DF2B58A
	v_mfma_f32_16x16x32_fp8_fp8 v[124:127], a[140:141], a[92:93], v[124:127]// 000000003DF4: D3F3007C 1DF2B98C
	v_mfma_f32_16x16x32_fp8_fp8 v[124:127], a[142:143], a[94:95], v[124:127]// 000000003DFC: D3F3007C 1DF2BD8E
	ds_read_b128 a[24:27], v2 offset:1536                      // 000000003E04: DBFE0600 18000002
	ds_read_b128 a[28:31], v2 offset:1600                      // 000000003E0C: DBFE0640 1C000002
	v_mfma_f32_16x16x32_fp8_fp8 v[128:131], a[136:137], a[96:97], v[128:131]// 000000003E14: D3F30080 1E02C188
	v_mfma_f32_16x16x32_fp8_fp8 v[128:131], a[138:139], a[98:99], v[128:131]// 000000003E1C: D3F30080 1E02C58A
	v_mfma_f32_16x16x32_fp8_fp8 v[128:131], a[140:141], a[100:101], v[128:131]// 000000003E24: D3F30080 1E02C98C
	v_mfma_f32_16x16x32_fp8_fp8 v[128:131], a[142:143], a[102:103], v[128:131]// 000000003E2C: D3F30080 1E02CD8E
	ds_read_b128 a[32:35], v2 offset:2048                      // 000000003E34: DBFE0800 20000002
	ds_read_b128 a[36:39], v2 offset:2112                      // 000000003E3C: DBFE0840 24000002
	v_mfma_f32_16x16x32_fp8_fp8 v[132:135], a[136:137], a[104:105], v[132:135]// 000000003E44: D3F30084 1E12D188
	v_mfma_f32_16x16x32_fp8_fp8 v[132:135], a[138:139], a[106:107], v[132:135]// 000000003E4C: D3F30084 1E12D58A
	v_mfma_f32_16x16x32_fp8_fp8 v[132:135], a[140:141], a[108:109], v[132:135]// 000000003E54: D3F30084 1E12D98C
	v_mfma_f32_16x16x32_fp8_fp8 v[132:135], a[142:143], a[110:111], v[132:135]// 000000003E5C: D3F30084 1E12DD8E
	ds_read_b128 a[40:43], v2 offset:2560                      // 000000003E64: DBFE0A00 28000002
	ds_read_b128 a[44:47], v2 offset:2624                      // 000000003E6C: DBFE0A40 2C000002
	v_mfma_f32_16x16x32_fp8_fp8 v[136:139], a[136:137], a[112:113], v[136:139]// 000000003E74: D3F30088 1E22E188
	v_mfma_f32_16x16x32_fp8_fp8 v[136:139], a[138:139], a[114:115], v[136:139]// 000000003E7C: D3F30088 1E22E58A
	v_mfma_f32_16x16x32_fp8_fp8 v[136:139], a[140:141], a[116:117], v[136:139]// 000000003E84: D3F30088 1E22E98C
	s_add_u32 s60, 0x180, s80                                  // 000000003E8C: 803C50FF 00000180
	s_cmp_lt_u32 s60, s81                                      // 000000003E94: BF0A513C
	s_cselect_b32 s57, s57, 0                                  // 000000003E98: 85398039
	v_mfma_f32_16x16x32_fp8_fp8 v[136:139], a[142:143], a[118:119], v[136:139]// 000000003E9C: D3F30088 1E22ED8E
	ds_read_b128 a[48:51], v2 offset:3072                      // 000000003EA4: DBFE0C00 30000002
	ds_read_b128 a[52:55], v2 offset:3136                      // 000000003EAC: DBFE0C40 34000002
	s_add_u32 s60, 0x100, s80                                  // 000000003EB4: 803C50FF 00000100
	s_cmp_lt_u32 s60, s81                                      // 000000003EBC: BF0A513C
	s_cselect_b32 s58, s58, 0                                  // 000000003EC0: 853A803A
	v_mfma_f32_16x16x32_fp8_fp8 v[140:143], a[136:137], a[120:121], v[140:143]// 000000003EC4: D3F3008C 1E32F188
	s_add_u32 s24, s58, s24                                    // 000000003ECC: 8018183A
	s_addc_u32 s25, 0, s25                                     // 000000003ED0: 82191980
	v_mfma_f32_16x16x32_fp8_fp8 v[140:143], a[138:139], a[122:123], v[140:143]// 000000003ED4: D3F3008C 1E32F58A
	s_add_u32 s20, s57, s20                                    // 000000003EDC: 80141439
	s_addc_u32 s21, 0, s21                                     // 000000003EE0: 82151580
	v_mfma_f32_16x16x32_fp8_fp8 v[140:143], a[140:141], a[124:125], v[140:143]// 000000003EE4: D3F3008C 1E32F98C
	s_add_u32 s84, s83, s84                                    // 000000003EEC: 80545453
	s_addc_u32 s85, 0, s85                                     // 000000003EF0: 82555580
	v_mfma_f32_16x16x32_fp8_fp8 v[140:143], a[142:143], a[126:127], v[140:143]// 000000003EF4: D3F3008C 1E32FD8E
	ds_read_b128 a[56:59], v2 offset:3584                      // 000000003EFC: DBFE0E00 38000002
	ds_read_b128 a[60:63], v2 offset:3648                      // 000000003F04: DBFE0E40 3C000002
	s_addk_i32 s80, 0x80                                       // 000000003F0C: B7500080
	s_cmp_lt_i32 s80, s81                                      // 000000003F10: BF045150
	s_cbranch_scc0 label_0547                                  // 000000003F14: BF840001
	s_branch label_0348                                        // 000000003F18: BF82FE01

0000000000003f1c <label_0547>:
	v_mul_f32_dpp v80, v24, v80 row_newbcast:0 row_mask:0xf bank_mask:0xf// 000000003F1C: 0AA0A0FA FF015018
	v_mul_f32_dpp v81, v24, v81 row_newbcast:1 row_mask:0xf bank_mask:0xf// 000000003F24: 0AA2A2FA FF015118
	v_mul_f32_dpp v82, v24, v82 row_newbcast:2 row_mask:0xf bank_mask:0xf// 000000003F2C: 0AA4A4FA FF015218
	v_mul_f32_dpp v83, v24, v83 row_newbcast:3 row_mask:0xf bank_mask:0xf// 000000003F34: 0AA6A6FA FF015318
	v_mul_f32_dpp v84, v24, v84 row_newbcast:0 row_mask:0xf bank_mask:0xf// 000000003F3C: 0AA8A8FA FF015018
	v_mul_f32_dpp v85, v24, v85 row_newbcast:1 row_mask:0xf bank_mask:0xf// 000000003F44: 0AAAAAFA FF015118
	v_mul_f32_dpp v86, v24, v86 row_newbcast:2 row_mask:0xf bank_mask:0xf// 000000003F4C: 0AACACFA FF015218
	v_mul_f32_dpp v87, v24, v87 row_newbcast:3 row_mask:0xf bank_mask:0xf// 000000003F54: 0AAEAEFA FF015318
	v_mul_f32_dpp v88, v24, v88 row_newbcast:0 row_mask:0xf bank_mask:0xf// 000000003F5C: 0AB0B0FA FF015018
	v_mul_f32_dpp v89, v24, v89 row_newbcast:1 row_mask:0xf bank_mask:0xf// 000000003F64: 0AB2B2FA FF015118
	v_mul_f32_dpp v90, v24, v90 row_newbcast:2 row_mask:0xf bank_mask:0xf// 000000003F6C: 0AB4B4FA FF015218
	v_mul_f32_dpp v91, v24, v91 row_newbcast:3 row_mask:0xf bank_mask:0xf// 000000003F74: 0AB6B6FA FF015318
	v_mul_f32_dpp v92, v24, v92 row_newbcast:0 row_mask:0xf bank_mask:0xf// 000000003F7C: 0AB8B8FA FF015018
	v_mul_f32_dpp v93, v24, v93 row_newbcast:1 row_mask:0xf bank_mask:0xf// 000000003F84: 0ABABAFA FF015118
	v_mul_f32_dpp v94, v24, v94 row_newbcast:2 row_mask:0xf bank_mask:0xf// 000000003F8C: 0ABCBCFA FF015218
	v_mul_f32_dpp v95, v24, v95 row_newbcast:3 row_mask:0xf bank_mask:0xf// 000000003F94: 0ABEBEFA FF015318
	v_mul_f32_dpp v96, v24, v96 row_newbcast:0 row_mask:0xf bank_mask:0xf// 000000003F9C: 0AC0C0FA FF015018
	v_mul_f32_dpp v97, v24, v97 row_newbcast:1 row_mask:0xf bank_mask:0xf// 000000003FA4: 0AC2C2FA FF015118
	v_mul_f32_dpp v98, v24, v98 row_newbcast:2 row_mask:0xf bank_mask:0xf// 000000003FAC: 0AC4C4FA FF015218
	v_mul_f32_dpp v99, v24, v99 row_newbcast:3 row_mask:0xf bank_mask:0xf// 000000003FB4: 0AC6C6FA FF015318
	v_mul_f32_dpp v100, v24, v100 row_newbcast:0 row_mask:0xf bank_mask:0xf// 000000003FBC: 0AC8C8FA FF015018
	v_mul_f32_dpp v101, v24, v101 row_newbcast:1 row_mask:0xf bank_mask:0xf// 000000003FC4: 0ACACAFA FF015118
	v_mul_f32_dpp v102, v24, v102 row_newbcast:2 row_mask:0xf bank_mask:0xf// 000000003FCC: 0ACCCCFA FF015218
	v_mul_f32_dpp v103, v24, v103 row_newbcast:3 row_mask:0xf bank_mask:0xf// 000000003FD4: 0ACECEFA FF015318
	v_mul_f32_dpp v104, v24, v104 row_newbcast:0 row_mask:0xf bank_mask:0xf// 000000003FDC: 0AD0D0FA FF015018
	v_mul_f32_dpp v105, v24, v105 row_newbcast:1 row_mask:0xf bank_mask:0xf// 000000003FE4: 0AD2D2FA FF015118
	v_mul_f32_dpp v106, v24, v106 row_newbcast:2 row_mask:0xf bank_mask:0xf// 000000003FEC: 0AD4D4FA FF015218
	v_mul_f32_dpp v107, v24, v107 row_newbcast:3 row_mask:0xf bank_mask:0xf// 000000003FF4: 0AD6D6FA FF015318
	v_mul_f32_dpp v108, v24, v108 row_newbcast:0 row_mask:0xf bank_mask:0xf// 000000003FFC: 0AD8D8FA FF015018
	v_mul_f32_dpp v109, v24, v109 row_newbcast:1 row_mask:0xf bank_mask:0xf// 000000004004: 0ADADAFA FF015118
	v_mul_f32_dpp v110, v24, v110 row_newbcast:2 row_mask:0xf bank_mask:0xf// 00000000400C: 0ADCDCFA FF015218
	v_mul_f32_dpp v111, v24, v111 row_newbcast:3 row_mask:0xf bank_mask:0xf// 000000004014: 0ADEDEFA FF015318
	v_mul_f32_dpp v112, v26, v112 row_newbcast:0 row_mask:0xf bank_mask:0xf// 00000000401C: 0AE0E0FA FF01501A
	v_mul_f32_dpp v113, v26, v113 row_newbcast:1 row_mask:0xf bank_mask:0xf// 000000004024: 0AE2E2FA FF01511A
	v_mul_f32_dpp v114, v26, v114 row_newbcast:2 row_mask:0xf bank_mask:0xf// 00000000402C: 0AE4E4FA FF01521A
	v_mul_f32_dpp v115, v26, v115 row_newbcast:3 row_mask:0xf bank_mask:0xf// 000000004034: 0AE6E6FA FF01531A
	v_mul_f32_dpp v116, v26, v116 row_newbcast:0 row_mask:0xf bank_mask:0xf// 00000000403C: 0AE8E8FA FF01501A
	v_mul_f32_dpp v117, v26, v117 row_newbcast:1 row_mask:0xf bank_mask:0xf// 000000004044: 0AEAEAFA FF01511A
	v_mul_f32_dpp v118, v26, v118 row_newbcast:2 row_mask:0xf bank_mask:0xf// 00000000404C: 0AECECFA FF01521A
	v_mul_f32_dpp v119, v26, v119 row_newbcast:3 row_mask:0xf bank_mask:0xf// 000000004054: 0AEEEEFA FF01531A
	v_mul_f32_dpp v120, v26, v120 row_newbcast:0 row_mask:0xf bank_mask:0xf// 00000000405C: 0AF0F0FA FF01501A
	v_mul_f32_dpp v121, v26, v121 row_newbcast:1 row_mask:0xf bank_mask:0xf// 000000004064: 0AF2F2FA FF01511A
	v_mul_f32_dpp v122, v26, v122 row_newbcast:2 row_mask:0xf bank_mask:0xf// 00000000406C: 0AF4F4FA FF01521A
	v_mul_f32_dpp v123, v26, v123 row_newbcast:3 row_mask:0xf bank_mask:0xf// 000000004074: 0AF6F6FA FF01531A
	v_mul_f32_dpp v124, v26, v124 row_newbcast:0 row_mask:0xf bank_mask:0xf// 00000000407C: 0AF8F8FA FF01501A
	v_mul_f32_dpp v125, v26, v125 row_newbcast:1 row_mask:0xf bank_mask:0xf// 000000004084: 0AFAFAFA FF01511A
	v_mul_f32_dpp v126, v26, v126 row_newbcast:2 row_mask:0xf bank_mask:0xf// 00000000408C: 0AFCFCFA FF01521A
	v_mul_f32_dpp v127, v26, v127 row_newbcast:3 row_mask:0xf bank_mask:0xf// 000000004094: 0AFEFEFA FF01531A
	v_mul_f32_dpp v128, v26, v128 row_newbcast:0 row_mask:0xf bank_mask:0xf// 00000000409C: 0B0100FA FF01501A
	v_mul_f32_dpp v129, v26, v129 row_newbcast:1 row_mask:0xf bank_mask:0xf// 0000000040A4: 0B0302FA FF01511A
	v_mul_f32_dpp v130, v26, v130 row_newbcast:2 row_mask:0xf bank_mask:0xf// 0000000040AC: 0B0504FA FF01521A
	v_mul_f32_dpp v131, v26, v131 row_newbcast:3 row_mask:0xf bank_mask:0xf// 0000000040B4: 0B0706FA FF01531A
	v_mul_f32_dpp v132, v26, v132 row_newbcast:0 row_mask:0xf bank_mask:0xf// 0000000040BC: 0B0908FA FF01501A
	v_mul_f32_dpp v133, v26, v133 row_newbcast:1 row_mask:0xf bank_mask:0xf// 0000000040C4: 0B0B0AFA FF01511A
	v_mul_f32_dpp v134, v26, v134 row_newbcast:2 row_mask:0xf bank_mask:0xf// 0000000040CC: 0B0D0CFA FF01521A
	v_mul_f32_dpp v135, v26, v135 row_newbcast:3 row_mask:0xf bank_mask:0xf// 0000000040D4: 0B0F0EFA FF01531A
	v_mul_f32_dpp v136, v26, v136 row_newbcast:0 row_mask:0xf bank_mask:0xf// 0000000040DC: 0B1110FA FF01501A
	v_mul_f32_dpp v137, v26, v137 row_newbcast:1 row_mask:0xf bank_mask:0xf// 0000000040E4: 0B1312FA FF01511A
	v_mul_f32_dpp v138, v26, v138 row_newbcast:2 row_mask:0xf bank_mask:0xf// 0000000040EC: 0B1514FA FF01521A
	v_mul_f32_dpp v139, v26, v139 row_newbcast:3 row_mask:0xf bank_mask:0xf// 0000000040F4: 0B1716FA FF01531A
	v_mul_f32_dpp v140, v26, v140 row_newbcast:0 row_mask:0xf bank_mask:0xf// 0000000040FC: 0B1918FA FF01501A
	v_mul_f32_dpp v141, v26, v141 row_newbcast:1 row_mask:0xf bank_mask:0xf// 000000004104: 0B1B1AFA FF01511A
	v_mul_f32_dpp v142, v26, v142 row_newbcast:2 row_mask:0xf bank_mask:0xf// 00000000410C: 0B1D1CFA FF01521A
	v_mul_f32_dpp v143, v26, v143 row_newbcast:3 row_mask:0xf bank_mask:0xf// 000000004114: 0B1F1EFA FF01531A
	v_mov_b32_e32 v4, v36                                      // 00000000411C: 7E080324
	v_mov_b32_e32 v5, v4                                       // 000000004120: 7E0A0304
	v_pk_mul_f32 v[80:81], v[4:5], v[80:81]                    // 000000004124: D3B14050 1802A104
	v_pk_mul_f32 v[112:113], v[4:5], v[112:113]                // 00000000412C: D3B14070 1802E104
	v_pk_mul_f32 v[82:83], v[4:5], v[82:83]                    // 000000004134: D3B14052 1802A504
	v_pk_mul_f32 v[114:115], v[4:5], v[114:115]                // 00000000413C: D3B14072 1802E504
	v_mov_b32_e32 v4, v37                                      // 000000004144: 7E080325
	v_mov_b32_e32 v5, v4                                       // 000000004148: 7E0A0304
	v_pk_mul_f32 v[84:85], v[4:5], v[84:85]                    // 00000000414C: D3B14054 1802A904
	v_pk_mul_f32 v[116:117], v[4:5], v[116:117]                // 000000004154: D3B14074 1802E904
	v_pk_mul_f32 v[86:87], v[4:5], v[86:87]                    // 00000000415C: D3B14056 1802AD04
	v_pk_mul_f32 v[118:119], v[4:5], v[118:119]                // 000000004164: D3B14076 1802ED04
	v_mov_b32_e32 v4, v38                                      // 00000000416C: 7E080326
	v_mov_b32_e32 v5, v4                                       // 000000004170: 7E0A0304
	v_pk_mul_f32 v[88:89], v[4:5], v[88:89]                    // 000000004174: D3B14058 1802B104
	v_pk_mul_f32 v[120:121], v[4:5], v[120:121]                // 00000000417C: D3B14078 1802F104
	v_pk_mul_f32 v[90:91], v[4:5], v[90:91]                    // 000000004184: D3B1405A 1802B504
	v_pk_mul_f32 v[122:123], v[4:5], v[122:123]                // 00000000418C: D3B1407A 1802F504
	v_mov_b32_e32 v4, v39                                      // 000000004194: 7E080327
	v_mov_b32_e32 v5, v4                                       // 000000004198: 7E0A0304
	v_pk_mul_f32 v[92:93], v[4:5], v[92:93]                    // 00000000419C: D3B1405C 1802B904
	v_pk_mul_f32 v[124:125], v[4:5], v[124:125]                // 0000000041A4: D3B1407C 1802F904
	v_pk_mul_f32 v[94:95], v[4:5], v[94:95]                    // 0000000041AC: D3B1405E 1802BD04
	v_pk_mul_f32 v[126:127], v[4:5], v[126:127]                // 0000000041B4: D3B1407E 1802FD04
	v_mov_b32_e32 v4, v40                                      // 0000000041BC: 7E080328
	v_mov_b32_e32 v5, v4                                       // 0000000041C0: 7E0A0304
	v_pk_mul_f32 v[96:97], v[4:5], v[96:97]                    // 0000000041C4: D3B14060 1802C104
	v_pk_mul_f32 v[128:129], v[4:5], v[128:129]                // 0000000041CC: D3B14080 18030104
	v_pk_mul_f32 v[98:99], v[4:5], v[98:99]                    // 0000000041D4: D3B14062 1802C504
	v_pk_mul_f32 v[130:131], v[4:5], v[130:131]                // 0000000041DC: D3B14082 18030504
	v_mov_b32_e32 v4, v41                                      // 0000000041E4: 7E080329
	v_mov_b32_e32 v5, v4                                       // 0000000041E8: 7E0A0304
	v_pk_mul_f32 v[100:101], v[4:5], v[100:101]                // 0000000041EC: D3B14064 1802C904
	v_pk_mul_f32 v[132:133], v[4:5], v[132:133]                // 0000000041F4: D3B14084 18030904
	v_pk_mul_f32 v[102:103], v[4:5], v[102:103]                // 0000000041FC: D3B14066 1802CD04
	v_pk_mul_f32 v[134:135], v[4:5], v[134:135]                // 000000004204: D3B14086 18030D04
	v_mov_b32_e32 v4, v42                                      // 00000000420C: 7E08032A
	v_mov_b32_e32 v5, v4                                       // 000000004210: 7E0A0304
	v_pk_mul_f32 v[104:105], v[4:5], v[104:105]                // 000000004214: D3B14068 1802D104
	v_pk_mul_f32 v[136:137], v[4:5], v[136:137]                // 00000000421C: D3B14088 18031104
	v_pk_mul_f32 v[106:107], v[4:5], v[106:107]                // 000000004224: D3B1406A 1802D504
	v_pk_mul_f32 v[138:139], v[4:5], v[138:139]                // 00000000422C: D3B1408A 18031504
	v_mov_b32_e32 v4, v43                                      // 000000004234: 7E08032B
	v_mov_b32_e32 v5, v4                                       // 000000004238: 7E0A0304
	v_pk_mul_f32 v[108:109], v[4:5], v[108:109]                // 00000000423C: D3B1406C 1802D904
	v_pk_mul_f32 v[140:141], v[4:5], v[140:141]                // 000000004244: D3B1408C 18031904
	v_pk_mul_f32 v[110:111], v[4:5], v[110:111]                // 00000000424C: D3B1406E 1802DD04
	v_pk_mul_f32 v[142:143], v[4:5], v[142:143]                // 000000004254: D3B1408E 18031D04
	s_cmp_eq_u32 s88, 0                                        // 00000000425C: BF068058
	s_cbranch_scc0 label_0C0A                                  // 000000004260: BF8405F1
	s_cmp_eq_u32 s89, 0                                        // 000000004264: BF068059
	s_cbranch_scc1 label_0760                                  // 000000004268: BF850145
	v_mov_b32_e32 v8, v1                                       // 00000000426C: 7E100301
	v_mov_b32_e32 v9, v1                                       // 000000004270: 7E120301
	s_mov_b32 s60, s6                                          // 000000004274: BEBC0006
	s_mov_b32 s61, s6                                          // 000000004278: BEBD0006
	v_pk_mul_f32 v[4:5], v[80:81], v[80:81]                    // 00000000427C: D3B14004 1802A150
	v_pk_mul_f32 v[6:7], v[82:83], v[82:83]                    // 000000004284: D3B14006 1802A552
	v_pk_fma_f32 v[4:5], v[4:5], s[78:79], v[8:9]              // 00000000428C: D3B04004 1C209D04
	v_pk_fma_f32 v[6:7], v[6:7], s[78:79], v[8:9]              // 000000004294: D3B04006 1C209D06
	v_pk_mul_f32 v[4:5], v[4:5], v[80:81]                      // 00000000429C: D3B14004 1802A104
	v_pk_mul_f32 v[6:7], v[6:7], v[82:83]                      // 0000000042A4: D3B14006 1802A506
	v_pk_mul_f32 v[4:5], v[4:5], s[60:61]                      // 0000000042AC: D3B14004 18007904
	v_pk_mul_f32 v[6:7], v[6:7], s[60:61]                      // 0000000042B4: D3B14006 18007906
	v_exp_f32_e32 v4, v4                                       // 0000000042BC: 7E084104
	v_exp_f32_e32 v5, v5                                       // 0000000042C0: 7E0A4105
	v_exp_f32_e32 v6, v6                                       // 0000000042C4: 7E0C4106
	v_exp_f32_e32 v7, v7                                       // 0000000042C8: 7E0E4107
	v_add_f32_e64 v4, v4, 1.0                                  // 0000000042CC: D1010004 0001E504
	v_add_f32_e64 v5, v5, 1.0                                  // 0000000042D4: D1010005 0001E505
	v_add_f32_e64 v6, v6, 1.0                                  // 0000000042DC: D1010006 0001E506
	v_add_f32_e64 v7, v7, 1.0                                  // 0000000042E4: D1010007 0001E507
	v_rcp_f32_e32 v4, v4                                       // 0000000042EC: 7E084504
	v_rcp_f32_e32 v5, v5                                       // 0000000042F0: 7E0A4505
	v_rcp_f32_e32 v6, v6                                       // 0000000042F4: 7E0C4506
	v_rcp_f32_e32 v7, v7                                       // 0000000042F8: 7E0E4507
	v_mul_f32_e32 v80, v80, v4                                 // 0000000042FC: 0AA00950
	v_mul_f32_e32 v81, v81, v5                                 // 000000004300: 0AA20B51
	v_mul_f32_e32 v82, v82, v6                                 // 000000004304: 0AA40D52
	v_mul_f32_e32 v83, v83, v7                                 // 000000004308: 0AA60F53
	v_mul_f32_e32 v80, v80, v112                               // 00000000430C: 0AA0E150
	v_mul_f32_e32 v81, v81, v113                               // 000000004310: 0AA2E351
	v_mul_f32_e32 v82, v82, v114                               // 000000004314: 0AA4E552
	v_mul_f32_e32 v83, v83, v115                               // 000000004318: 0AA6E753
	v_pk_mul_f32 v[4:5], v[84:85], v[84:85]                    // 00000000431C: D3B14004 1802A954
	v_pk_mul_f32 v[6:7], v[86:87], v[86:87]                    // 000000004324: D3B14006 1802AD56
	v_pk_fma_f32 v[4:5], v[4:5], s[78:79], v[8:9]              // 00000000432C: D3B04004 1C209D04
	v_pk_fma_f32 v[6:7], v[6:7], s[78:79], v[8:9]              // 000000004334: D3B04006 1C209D06
	v_pk_mul_f32 v[4:5], v[4:5], v[84:85]                      // 00000000433C: D3B14004 1802A904
	v_pk_mul_f32 v[6:7], v[6:7], v[86:87]                      // 000000004344: D3B14006 1802AD06
	v_pk_mul_f32 v[4:5], v[4:5], s[60:61]                      // 00000000434C: D3B14004 18007904
	v_pk_mul_f32 v[6:7], v[6:7], s[60:61]                      // 000000004354: D3B14006 18007906
	v_exp_f32_e32 v4, v4                                       // 00000000435C: 7E084104
	v_exp_f32_e32 v5, v5                                       // 000000004360: 7E0A4105
	v_exp_f32_e32 v6, v6                                       // 000000004364: 7E0C4106
	v_exp_f32_e32 v7, v7                                       // 000000004368: 7E0E4107
	v_add_f32_e64 v4, v4, 1.0                                  // 00000000436C: D1010004 0001E504
	v_add_f32_e64 v5, v5, 1.0                                  // 000000004374: D1010005 0001E505
	v_add_f32_e64 v6, v6, 1.0                                  // 00000000437C: D1010006 0001E506
	v_add_f32_e64 v7, v7, 1.0                                  // 000000004384: D1010007 0001E507
	v_rcp_f32_e32 v4, v4                                       // 00000000438C: 7E084504
	v_rcp_f32_e32 v5, v5                                       // 000000004390: 7E0A4505
	v_rcp_f32_e32 v6, v6                                       // 000000004394: 7E0C4506
	v_rcp_f32_e32 v7, v7                                       // 000000004398: 7E0E4507
	v_mul_f32_e32 v84, v84, v4                                 // 00000000439C: 0AA80954
	v_mul_f32_e32 v85, v85, v5                                 // 0000000043A0: 0AAA0B55
	v_mul_f32_e32 v86, v86, v6                                 // 0000000043A4: 0AAC0D56
	v_mul_f32_e32 v87, v87, v7                                 // 0000000043A8: 0AAE0F57
	v_mul_f32_e32 v84, v84, v116                               // 0000000043AC: 0AA8E954
	v_mul_f32_e32 v85, v85, v117                               // 0000000043B0: 0AAAEB55
	v_mul_f32_e32 v86, v86, v118                               // 0000000043B4: 0AACED56
	v_mul_f32_e32 v87, v87, v119                               // 0000000043B8: 0AAEEF57
	v_pk_mul_f32 v[4:5], v[88:89], v[88:89]                    // 0000000043BC: D3B14004 1802B158
	v_pk_mul_f32 v[6:7], v[90:91], v[90:91]                    // 0000000043C4: D3B14006 1802B55A
	v_pk_fma_f32 v[4:5], v[4:5], s[78:79], v[8:9]              // 0000000043CC: D3B04004 1C209D04
	v_pk_fma_f32 v[6:7], v[6:7], s[78:79], v[8:9]              // 0000000043D4: D3B04006 1C209D06
	v_pk_mul_f32 v[4:5], v[4:5], v[88:89]                      // 0000000043DC: D3B14004 1802B104
	v_pk_mul_f32 v[6:7], v[6:7], v[90:91]                      // 0000000043E4: D3B14006 1802B506
	v_pk_mul_f32 v[4:5], v[4:5], s[60:61]                      // 0000000043EC: D3B14004 18007904
	v_pk_mul_f32 v[6:7], v[6:7], s[60:61]                      // 0000000043F4: D3B14006 18007906
	v_exp_f32_e32 v4, v4                                       // 0000000043FC: 7E084104
	v_exp_f32_e32 v5, v5                                       // 000000004400: 7E0A4105
	v_exp_f32_e32 v6, v6                                       // 000000004404: 7E0C4106
	v_exp_f32_e32 v7, v7                                       // 000000004408: 7E0E4107
	v_add_f32_e64 v4, v4, 1.0                                  // 00000000440C: D1010004 0001E504
	v_add_f32_e64 v5, v5, 1.0                                  // 000000004414: D1010005 0001E505
	v_add_f32_e64 v6, v6, 1.0                                  // 00000000441C: D1010006 0001E506
	v_add_f32_e64 v7, v7, 1.0                                  // 000000004424: D1010007 0001E507
	v_rcp_f32_e32 v4, v4                                       // 00000000442C: 7E084504
	v_rcp_f32_e32 v5, v5                                       // 000000004430: 7E0A4505
	v_rcp_f32_e32 v6, v6                                       // 000000004434: 7E0C4506
	v_rcp_f32_e32 v7, v7                                       // 000000004438: 7E0E4507
	v_mul_f32_e32 v88, v88, v4                                 // 00000000443C: 0AB00958
	v_mul_f32_e32 v89, v89, v5                                 // 000000004440: 0AB20B59
	v_mul_f32_e32 v90, v90, v6                                 // 000000004444: 0AB40D5A
	v_mul_f32_e32 v91, v91, v7                                 // 000000004448: 0AB60F5B
	v_mul_f32_e32 v88, v88, v120                               // 00000000444C: 0AB0F158
	v_mul_f32_e32 v89, v89, v121                               // 000000004450: 0AB2F359
	v_mul_f32_e32 v90, v90, v122                               // 000000004454: 0AB4F55A
	v_mul_f32_e32 v91, v91, v123                               // 000000004458: 0AB6F75B
	v_pk_mul_f32 v[4:5], v[92:93], v[92:93]                    // 00000000445C: D3B14004 1802B95C
	v_pk_mul_f32 v[6:7], v[94:95], v[94:95]                    // 000000004464: D3B14006 1802BD5E
	v_pk_fma_f32 v[4:5], v[4:5], s[78:79], v[8:9]              // 00000000446C: D3B04004 1C209D04
	v_pk_fma_f32 v[6:7], v[6:7], s[78:79], v[8:9]              // 000000004474: D3B04006 1C209D06
	v_pk_mul_f32 v[4:5], v[4:5], v[92:93]                      // 00000000447C: D3B14004 1802B904
	v_pk_mul_f32 v[6:7], v[6:7], v[94:95]                      // 000000004484: D3B14006 1802BD06
	v_pk_mul_f32 v[4:5], v[4:5], s[60:61]                      // 00000000448C: D3B14004 18007904
	v_pk_mul_f32 v[6:7], v[6:7], s[60:61]                      // 000000004494: D3B14006 18007906
	v_exp_f32_e32 v4, v4                                       // 00000000449C: 7E084104
	v_exp_f32_e32 v5, v5                                       // 0000000044A0: 7E0A4105
	v_exp_f32_e32 v6, v6                                       // 0000000044A4: 7E0C4106
	v_exp_f32_e32 v7, v7                                       // 0000000044A8: 7E0E4107
	v_add_f32_e64 v4, v4, 1.0                                  // 0000000044AC: D1010004 0001E504
	v_add_f32_e64 v5, v5, 1.0                                  // 0000000044B4: D1010005 0001E505
	v_add_f32_e64 v6, v6, 1.0                                  // 0000000044BC: D1010006 0001E506
	v_add_f32_e64 v7, v7, 1.0                                  // 0000000044C4: D1010007 0001E507
	v_rcp_f32_e32 v4, v4                                       // 0000000044CC: 7E084504
	v_rcp_f32_e32 v5, v5                                       // 0000000044D0: 7E0A4505
	v_rcp_f32_e32 v6, v6                                       // 0000000044D4: 7E0C4506
	v_rcp_f32_e32 v7, v7                                       // 0000000044D8: 7E0E4507
	v_mul_f32_e32 v92, v92, v4                                 // 0000000044DC: 0AB8095C
	v_mul_f32_e32 v93, v93, v5                                 // 0000000044E0: 0ABA0B5D
	v_mul_f32_e32 v94, v94, v6                                 // 0000000044E4: 0ABC0D5E
	v_mul_f32_e32 v95, v95, v7                                 // 0000000044E8: 0ABE0F5F
	v_mul_f32_e32 v92, v92, v124                               // 0000000044EC: 0AB8F95C
	v_mul_f32_e32 v93, v93, v125                               // 0000000044F0: 0ABAFB5D
	v_mul_f32_e32 v94, v94, v126                               // 0000000044F4: 0ABCFD5E
	v_mul_f32_e32 v95, v95, v127                               // 0000000044F8: 0ABEFF5F
	v_pk_mul_f32 v[4:5], v[96:97], v[96:97]                    // 0000000044FC: D3B14004 1802C160
	v_pk_mul_f32 v[6:7], v[98:99], v[98:99]                    // 000000004504: D3B14006 1802C562
	v_pk_fma_f32 v[4:5], v[4:5], s[78:79], v[8:9]              // 00000000450C: D3B04004 1C209D04
	v_pk_fma_f32 v[6:7], v[6:7], s[78:79], v[8:9]              // 000000004514: D3B04006 1C209D06
	v_pk_mul_f32 v[4:5], v[4:5], v[96:97]                      // 00000000451C: D3B14004 1802C104
	v_pk_mul_f32 v[6:7], v[6:7], v[98:99]                      // 000000004524: D3B14006 1802C506
	v_pk_mul_f32 v[4:5], v[4:5], s[60:61]                      // 00000000452C: D3B14004 18007904
	v_pk_mul_f32 v[6:7], v[6:7], s[60:61]                      // 000000004534: D3B14006 18007906
	v_exp_f32_e32 v4, v4                                       // 00000000453C: 7E084104
	v_exp_f32_e32 v5, v5                                       // 000000004540: 7E0A4105
	v_exp_f32_e32 v6, v6                                       // 000000004544: 7E0C4106
	v_exp_f32_e32 v7, v7                                       // 000000004548: 7E0E4107
	v_add_f32_e64 v4, v4, 1.0                                  // 00000000454C: D1010004 0001E504
	v_add_f32_e64 v5, v5, 1.0                                  // 000000004554: D1010005 0001E505
	v_add_f32_e64 v6, v6, 1.0                                  // 00000000455C: D1010006 0001E506
	v_add_f32_e64 v7, v7, 1.0                                  // 000000004564: D1010007 0001E507
	v_rcp_f32_e32 v4, v4                                       // 00000000456C: 7E084504
	v_rcp_f32_e32 v5, v5                                       // 000000004570: 7E0A4505
	v_rcp_f32_e32 v6, v6                                       // 000000004574: 7E0C4506
	v_rcp_f32_e32 v7, v7                                       // 000000004578: 7E0E4507
	v_mul_f32_e32 v96, v96, v4                                 // 00000000457C: 0AC00960
	v_mul_f32_e32 v97, v97, v5                                 // 000000004580: 0AC20B61
	v_mul_f32_e32 v98, v98, v6                                 // 000000004584: 0AC40D62
	v_mul_f32_e32 v99, v99, v7                                 // 000000004588: 0AC60F63
	v_mul_f32_e32 v96, v96, v128                               // 00000000458C: 0AC10160
	v_mul_f32_e32 v97, v97, v129                               // 000000004590: 0AC30361
	v_mul_f32_e32 v98, v98, v130                               // 000000004594: 0AC50562
	v_mul_f32_e32 v99, v99, v131                               // 000000004598: 0AC70763
	v_pk_mul_f32 v[4:5], v[100:101], v[100:101]                // 00000000459C: D3B14004 1802C964
	v_pk_mul_f32 v[6:7], v[102:103], v[102:103]                // 0000000045A4: D3B14006 1802CD66
	v_pk_fma_f32 v[4:5], v[4:5], s[78:79], v[8:9]              // 0000000045AC: D3B04004 1C209D04
	v_pk_fma_f32 v[6:7], v[6:7], s[78:79], v[8:9]              // 0000000045B4: D3B04006 1C209D06
	v_pk_mul_f32 v[4:5], v[4:5], v[100:101]                    // 0000000045BC: D3B14004 1802C904
	v_pk_mul_f32 v[6:7], v[6:7], v[102:103]                    // 0000000045C4: D3B14006 1802CD06
	v_pk_mul_f32 v[4:5], v[4:5], s[60:61]                      // 0000000045CC: D3B14004 18007904
	v_pk_mul_f32 v[6:7], v[6:7], s[60:61]                      // 0000000045D4: D3B14006 18007906
	v_exp_f32_e32 v4, v4                                       // 0000000045DC: 7E084104
	v_exp_f32_e32 v5, v5                                       // 0000000045E0: 7E0A4105
	v_exp_f32_e32 v6, v6                                       // 0000000045E4: 7E0C4106
	v_exp_f32_e32 v7, v7                                       // 0000000045E8: 7E0E4107
	v_add_f32_e64 v4, v4, 1.0                                  // 0000000045EC: D1010004 0001E504
	v_add_f32_e64 v5, v5, 1.0                                  // 0000000045F4: D1010005 0001E505
	v_add_f32_e64 v6, v6, 1.0                                  // 0000000045FC: D1010006 0001E506
	v_add_f32_e64 v7, v7, 1.0                                  // 000000004604: D1010007 0001E507
	v_rcp_f32_e32 v4, v4                                       // 00000000460C: 7E084504
	v_rcp_f32_e32 v5, v5                                       // 000000004610: 7E0A4505
	v_rcp_f32_e32 v6, v6                                       // 000000004614: 7E0C4506
	v_rcp_f32_e32 v7, v7                                       // 000000004618: 7E0E4507
	v_mul_f32_e32 v100, v100, v4                               // 00000000461C: 0AC80964
	v_mul_f32_e32 v101, v101, v5                               // 000000004620: 0ACA0B65
	v_mul_f32_e32 v102, v102, v6                               // 000000004624: 0ACC0D66
	v_mul_f32_e32 v103, v103, v7                               // 000000004628: 0ACE0F67
	v_mul_f32_e32 v100, v100, v132                             // 00000000462C: 0AC90964
	v_mul_f32_e32 v101, v101, v133                             // 000000004630: 0ACB0B65
	v_mul_f32_e32 v102, v102, v134                             // 000000004634: 0ACD0D66
	v_mul_f32_e32 v103, v103, v135                             // 000000004638: 0ACF0F67
	v_pk_mul_f32 v[4:5], v[104:105], v[104:105]                // 00000000463C: D3B14004 1802D168
	v_pk_mul_f32 v[6:7], v[106:107], v[106:107]                // 000000004644: D3B14006 1802D56A
	v_pk_fma_f32 v[4:5], v[4:5], s[78:79], v[8:9]              // 00000000464C: D3B04004 1C209D04
	v_pk_fma_f32 v[6:7], v[6:7], s[78:79], v[8:9]              // 000000004654: D3B04006 1C209D06
	v_pk_mul_f32 v[4:5], v[4:5], v[104:105]                    // 00000000465C: D3B14004 1802D104
	v_pk_mul_f32 v[6:7], v[6:7], v[106:107]                    // 000000004664: D3B14006 1802D506
	v_pk_mul_f32 v[4:5], v[4:5], s[60:61]                      // 00000000466C: D3B14004 18007904
	v_pk_mul_f32 v[6:7], v[6:7], s[60:61]                      // 000000004674: D3B14006 18007906
	v_exp_f32_e32 v4, v4                                       // 00000000467C: 7E084104
	v_exp_f32_e32 v5, v5                                       // 000000004680: 7E0A4105
	v_exp_f32_e32 v6, v6                                       // 000000004684: 7E0C4106
	v_exp_f32_e32 v7, v7                                       // 000000004688: 7E0E4107
	v_add_f32_e64 v4, v4, 1.0                                  // 00000000468C: D1010004 0001E504
	v_add_f32_e64 v5, v5, 1.0                                  // 000000004694: D1010005 0001E505
	v_add_f32_e64 v6, v6, 1.0                                  // 00000000469C: D1010006 0001E506
	v_add_f32_e64 v7, v7, 1.0                                  // 0000000046A4: D1010007 0001E507
	v_rcp_f32_e32 v4, v4                                       // 0000000046AC: 7E084504
	v_rcp_f32_e32 v5, v5                                       // 0000000046B0: 7E0A4505
	v_rcp_f32_e32 v6, v6                                       // 0000000046B4: 7E0C4506
	v_rcp_f32_e32 v7, v7                                       // 0000000046B8: 7E0E4507
	v_mul_f32_e32 v104, v104, v4                               // 0000000046BC: 0AD00968
	v_mul_f32_e32 v105, v105, v5                               // 0000000046C0: 0AD20B69
	v_mul_f32_e32 v106, v106, v6                               // 0000000046C4: 0AD40D6A
	v_mul_f32_e32 v107, v107, v7                               // 0000000046C8: 0AD60F6B
	v_mul_f32_e32 v104, v104, v136                             // 0000000046CC: 0AD11168
	v_mul_f32_e32 v105, v105, v137                             // 0000000046D0: 0AD31369
	v_mul_f32_e32 v106, v106, v138                             // 0000000046D4: 0AD5156A
	v_mul_f32_e32 v107, v107, v139                             // 0000000046D8: 0AD7176B
	v_pk_mul_f32 v[4:5], v[108:109], v[108:109]                // 0000000046DC: D3B14004 1802D96C
	v_pk_mul_f32 v[6:7], v[110:111], v[110:111]                // 0000000046E4: D3B14006 1802DD6E
	v_pk_fma_f32 v[4:5], v[4:5], s[78:79], v[8:9]              // 0000000046EC: D3B04004 1C209D04
	v_pk_fma_f32 v[6:7], v[6:7], s[78:79], v[8:9]              // 0000000046F4: D3B04006 1C209D06
	v_pk_mul_f32 v[4:5], v[4:5], v[108:109]                    // 0000000046FC: D3B14004 1802D904
	v_pk_mul_f32 v[6:7], v[6:7], v[110:111]                    // 000000004704: D3B14006 1802DD06
	v_pk_mul_f32 v[4:5], v[4:5], s[60:61]                      // 00000000470C: D3B14004 18007904
	v_pk_mul_f32 v[6:7], v[6:7], s[60:61]                      // 000000004714: D3B14006 18007906
	v_exp_f32_e32 v4, v4                                       // 00000000471C: 7E084104
	v_exp_f32_e32 v5, v5                                       // 000000004720: 7E0A4105
	v_exp_f32_e32 v6, v6                                       // 000000004724: 7E0C4106
	v_exp_f32_e32 v7, v7                                       // 000000004728: 7E0E4107
	v_add_f32_e64 v4, v4, 1.0                                  // 00000000472C: D1010004 0001E504
	v_add_f32_e64 v5, v5, 1.0                                  // 000000004734: D1010005 0001E505
	v_add_f32_e64 v6, v6, 1.0                                  // 00000000473C: D1010006 0001E506
	v_add_f32_e64 v7, v7, 1.0                                  // 000000004744: D1010007 0001E507
	v_rcp_f32_e32 v4, v4                                       // 00000000474C: 7E084504
	v_rcp_f32_e32 v5, v5                                       // 000000004750: 7E0A4505
	v_rcp_f32_e32 v6, v6                                       // 000000004754: 7E0C4506
	v_rcp_f32_e32 v7, v7                                       // 000000004758: 7E0E4507
	v_mul_f32_e32 v108, v108, v4                               // 00000000475C: 0AD8096C
	v_mul_f32_e32 v109, v109, v5                               // 000000004760: 0ADA0B6D
	v_mul_f32_e32 v110, v110, v6                               // 000000004764: 0ADC0D6E
	v_mul_f32_e32 v111, v111, v7                               // 000000004768: 0ADE0F6F
	v_mul_f32_e32 v108, v108, v140                             // 00000000476C: 0AD9196C
	v_mul_f32_e32 v109, v109, v141                             // 000000004770: 0ADB1B6D
	v_mul_f32_e32 v110, v110, v142                             // 000000004774: 0ADD1D6E
	v_mul_f32_e32 v111, v111, v143                             // 000000004778: 0ADF1F6F
	s_branch label_0860                                        // 00000000477C: BF820100

0000000000004780 <label_0760>:
	v_mul_f32_e64 v4, -v80, s6                                 // 000000004780: D1050004 20000D50
	v_mul_f32_e64 v5, -v81, s6                                 // 000000004788: D1050005 20000D51
	v_mul_f32_e64 v6, -v82, s6                                 // 000000004790: D1050006 20000D52
	v_mul_f32_e64 v7, -v83, s6                                 // 000000004798: D1050007 20000D53
	v_exp_f32_e32 v4, v4                                       // 0000000047A0: 7E084104
	v_exp_f32_e32 v5, v5                                       // 0000000047A4: 7E0A4105
	v_exp_f32_e32 v6, v6                                       // 0000000047A8: 7E0C4106
	v_exp_f32_e32 v7, v7                                       // 0000000047AC: 7E0E4107
	v_add_f32_e64 v4, v4, 1.0                                  // 0000000047B0: D1010004 0001E504
	v_add_f32_e64 v5, v5, 1.0                                  // 0000000047B8: D1010005 0001E505
	v_add_f32_e64 v6, v6, 1.0                                  // 0000000047C0: D1010006 0001E506
	v_add_f32_e64 v7, v7, 1.0                                  // 0000000047C8: D1010007 0001E507
	v_rcp_f32_e32 v4, v4                                       // 0000000047D0: 7E084504
	v_rcp_f32_e32 v5, v5                                       // 0000000047D4: 7E0A4505
	v_rcp_f32_e32 v6, v6                                       // 0000000047D8: 7E0C4506
	v_rcp_f32_e32 v7, v7                                       // 0000000047DC: 7E0E4507
	v_mul_f32_e32 v80, v80, v4                                 // 0000000047E0: 0AA00950
	v_mul_f32_e32 v81, v81, v5                                 // 0000000047E4: 0AA20B51
	v_mul_f32_e32 v82, v82, v6                                 // 0000000047E8: 0AA40D52
	v_mul_f32_e32 v83, v83, v7                                 // 0000000047EC: 0AA60F53
	v_mul_f32_e32 v80, v80, v112                               // 0000000047F0: 0AA0E150
	v_mul_f32_e32 v81, v81, v113                               // 0000000047F4: 0AA2E351
	v_mul_f32_e32 v82, v82, v114                               // 0000000047F8: 0AA4E552
	v_mul_f32_e32 v83, v83, v115                               // 0000000047FC: 0AA6E753
	v_mul_f32_e64 v4, -v84, s6                                 // 000000004800: D1050004 20000D54
	v_mul_f32_e64 v5, -v85, s6                                 // 000000004808: D1050005 20000D55
	v_mul_f32_e64 v6, -v86, s6                                 // 000000004810: D1050006 20000D56
	v_mul_f32_e64 v7, -v87, s6                                 // 000000004818: D1050007 20000D57
	v_exp_f32_e32 v4, v4                                       // 000000004820: 7E084104
	v_exp_f32_e32 v5, v5                                       // 000000004824: 7E0A4105
	v_exp_f32_e32 v6, v6                                       // 000000004828: 7E0C4106
	v_exp_f32_e32 v7, v7                                       // 00000000482C: 7E0E4107
	v_add_f32_e64 v4, v4, 1.0                                  // 000000004830: D1010004 0001E504
	v_add_f32_e64 v5, v5, 1.0                                  // 000000004838: D1010005 0001E505
	v_add_f32_e64 v6, v6, 1.0                                  // 000000004840: D1010006 0001E506
	v_add_f32_e64 v7, v7, 1.0                                  // 000000004848: D1010007 0001E507
	v_rcp_f32_e32 v4, v4                                       // 000000004850: 7E084504
	v_rcp_f32_e32 v5, v5                                       // 000000004854: 7E0A4505
	v_rcp_f32_e32 v6, v6                                       // 000000004858: 7E0C4506
	v_rcp_f32_e32 v7, v7                                       // 00000000485C: 7E0E4507
	v_mul_f32_e32 v84, v84, v4                                 // 000000004860: 0AA80954
	v_mul_f32_e32 v85, v85, v5                                 // 000000004864: 0AAA0B55
	v_mul_f32_e32 v86, v86, v6                                 // 000000004868: 0AAC0D56
	v_mul_f32_e32 v87, v87, v7                                 // 00000000486C: 0AAE0F57
	v_mul_f32_e32 v84, v84, v116                               // 000000004870: 0AA8E954
	v_mul_f32_e32 v85, v85, v117                               // 000000004874: 0AAAEB55
	v_mul_f32_e32 v86, v86, v118                               // 000000004878: 0AACED56
	v_mul_f32_e32 v87, v87, v119                               // 00000000487C: 0AAEEF57
	v_mul_f32_e64 v4, -v88, s6                                 // 000000004880: D1050004 20000D58
	v_mul_f32_e64 v5, -v89, s6                                 // 000000004888: D1050005 20000D59
	v_mul_f32_e64 v6, -v90, s6                                 // 000000004890: D1050006 20000D5A
	v_mul_f32_e64 v7, -v91, s6                                 // 000000004898: D1050007 20000D5B
	v_exp_f32_e32 v4, v4                                       // 0000000048A0: 7E084104
	v_exp_f32_e32 v5, v5                                       // 0000000048A4: 7E0A4105
	v_exp_f32_e32 v6, v6                                       // 0000000048A8: 7E0C4106
	v_exp_f32_e32 v7, v7                                       // 0000000048AC: 7E0E4107
	v_add_f32_e64 v4, v4, 1.0                                  // 0000000048B0: D1010004 0001E504
	v_add_f32_e64 v5, v5, 1.0                                  // 0000000048B8: D1010005 0001E505
	v_add_f32_e64 v6, v6, 1.0                                  // 0000000048C0: D1010006 0001E506
	v_add_f32_e64 v7, v7, 1.0                                  // 0000000048C8: D1010007 0001E507
	v_rcp_f32_e32 v4, v4                                       // 0000000048D0: 7E084504
	v_rcp_f32_e32 v5, v5                                       // 0000000048D4: 7E0A4505
	v_rcp_f32_e32 v6, v6                                       // 0000000048D8: 7E0C4506
	v_rcp_f32_e32 v7, v7                                       // 0000000048DC: 7E0E4507
	v_mul_f32_e32 v88, v88, v4                                 // 0000000048E0: 0AB00958
	v_mul_f32_e32 v89, v89, v5                                 // 0000000048E4: 0AB20B59
	v_mul_f32_e32 v90, v90, v6                                 // 0000000048E8: 0AB40D5A
	v_mul_f32_e32 v91, v91, v7                                 // 0000000048EC: 0AB60F5B
	v_mul_f32_e32 v88, v88, v120                               // 0000000048F0: 0AB0F158
	v_mul_f32_e32 v89, v89, v121                               // 0000000048F4: 0AB2F359
	v_mul_f32_e32 v90, v90, v122                               // 0000000048F8: 0AB4F55A
	v_mul_f32_e32 v91, v91, v123                               // 0000000048FC: 0AB6F75B
	v_mul_f32_e64 v4, -v92, s6                                 // 000000004900: D1050004 20000D5C
	v_mul_f32_e64 v5, -v93, s6                                 // 000000004908: D1050005 20000D5D
	v_mul_f32_e64 v6, -v94, s6                                 // 000000004910: D1050006 20000D5E
	v_mul_f32_e64 v7, -v95, s6                                 // 000000004918: D1050007 20000D5F
	v_exp_f32_e32 v4, v4                                       // 000000004920: 7E084104
	v_exp_f32_e32 v5, v5                                       // 000000004924: 7E0A4105
	v_exp_f32_e32 v6, v6                                       // 000000004928: 7E0C4106
	v_exp_f32_e32 v7, v7                                       // 00000000492C: 7E0E4107
	v_add_f32_e64 v4, v4, 1.0                                  // 000000004930: D1010004 0001E504
	v_add_f32_e64 v5, v5, 1.0                                  // 000000004938: D1010005 0001E505
	v_add_f32_e64 v6, v6, 1.0                                  // 000000004940: D1010006 0001E506
	v_add_f32_e64 v7, v7, 1.0                                  // 000000004948: D1010007 0001E507
	v_rcp_f32_e32 v4, v4                                       // 000000004950: 7E084504
	v_rcp_f32_e32 v5, v5                                       // 000000004954: 7E0A4505
	v_rcp_f32_e32 v6, v6                                       // 000000004958: 7E0C4506
	v_rcp_f32_e32 v7, v7                                       // 00000000495C: 7E0E4507
	v_mul_f32_e32 v92, v92, v4                                 // 000000004960: 0AB8095C
	v_mul_f32_e32 v93, v93, v5                                 // 000000004964: 0ABA0B5D
	v_mul_f32_e32 v94, v94, v6                                 // 000000004968: 0ABC0D5E
	v_mul_f32_e32 v95, v95, v7                                 // 00000000496C: 0ABE0F5F
	v_mul_f32_e32 v92, v92, v124                               // 000000004970: 0AB8F95C
	v_mul_f32_e32 v93, v93, v125                               // 000000004974: 0ABAFB5D
	v_mul_f32_e32 v94, v94, v126                               // 000000004978: 0ABCFD5E
	v_mul_f32_e32 v95, v95, v127                               // 00000000497C: 0ABEFF5F
	v_mul_f32_e64 v4, -v96, s6                                 // 000000004980: D1050004 20000D60
	v_mul_f32_e64 v5, -v97, s6                                 // 000000004988: D1050005 20000D61
	v_mul_f32_e64 v6, -v98, s6                                 // 000000004990: D1050006 20000D62
	v_mul_f32_e64 v7, -v99, s6                                 // 000000004998: D1050007 20000D63
	v_exp_f32_e32 v4, v4                                       // 0000000049A0: 7E084104
	v_exp_f32_e32 v5, v5                                       // 0000000049A4: 7E0A4105
	v_exp_f32_e32 v6, v6                                       // 0000000049A8: 7E0C4106
	v_exp_f32_e32 v7, v7                                       // 0000000049AC: 7E0E4107
	v_add_f32_e64 v4, v4, 1.0                                  // 0000000049B0: D1010004 0001E504
	v_add_f32_e64 v5, v5, 1.0                                  // 0000000049B8: D1010005 0001E505
	v_add_f32_e64 v6, v6, 1.0                                  // 0000000049C0: D1010006 0001E506
	v_add_f32_e64 v7, v7, 1.0                                  // 0000000049C8: D1010007 0001E507
	v_rcp_f32_e32 v4, v4                                       // 0000000049D0: 7E084504
	v_rcp_f32_e32 v5, v5                                       // 0000000049D4: 7E0A4505
	v_rcp_f32_e32 v6, v6                                       // 0000000049D8: 7E0C4506
	v_rcp_f32_e32 v7, v7                                       // 0000000049DC: 7E0E4507
	v_mul_f32_e32 v96, v96, v4                                 // 0000000049E0: 0AC00960
	v_mul_f32_e32 v97, v97, v5                                 // 0000000049E4: 0AC20B61
	v_mul_f32_e32 v98, v98, v6                                 // 0000000049E8: 0AC40D62
	v_mul_f32_e32 v99, v99, v7                                 // 0000000049EC: 0AC60F63
	v_mul_f32_e32 v96, v96, v128                               // 0000000049F0: 0AC10160
	v_mul_f32_e32 v97, v97, v129                               // 0000000049F4: 0AC30361
	v_mul_f32_e32 v98, v98, v130                               // 0000000049F8: 0AC50562
	v_mul_f32_e32 v99, v99, v131                               // 0000000049FC: 0AC70763
	v_mul_f32_e64 v4, -v100, s6                                // 000000004A00: D1050004 20000D64
	v_mul_f32_e64 v5, -v101, s6                                // 000000004A08: D1050005 20000D65
	v_mul_f32_e64 v6, -v102, s6                                // 000000004A10: D1050006 20000D66
	v_mul_f32_e64 v7, -v103, s6                                // 000000004A18: D1050007 20000D67
	v_exp_f32_e32 v4, v4                                       // 000000004A20: 7E084104
	v_exp_f32_e32 v5, v5                                       // 000000004A24: 7E0A4105
	v_exp_f32_e32 v6, v6                                       // 000000004A28: 7E0C4106
	v_exp_f32_e32 v7, v7                                       // 000000004A2C: 7E0E4107
	v_add_f32_e64 v4, v4, 1.0                                  // 000000004A30: D1010004 0001E504
	v_add_f32_e64 v5, v5, 1.0                                  // 000000004A38: D1010005 0001E505
	v_add_f32_e64 v6, v6, 1.0                                  // 000000004A40: D1010006 0001E506
	v_add_f32_e64 v7, v7, 1.0                                  // 000000004A48: D1010007 0001E507
	v_rcp_f32_e32 v4, v4                                       // 000000004A50: 7E084504
	v_rcp_f32_e32 v5, v5                                       // 000000004A54: 7E0A4505
	v_rcp_f32_e32 v6, v6                                       // 000000004A58: 7E0C4506
	v_rcp_f32_e32 v7, v7                                       // 000000004A5C: 7E0E4507
	v_mul_f32_e32 v100, v100, v4                               // 000000004A60: 0AC80964
	v_mul_f32_e32 v101, v101, v5                               // 000000004A64: 0ACA0B65
	v_mul_f32_e32 v102, v102, v6                               // 000000004A68: 0ACC0D66
	v_mul_f32_e32 v103, v103, v7                               // 000000004A6C: 0ACE0F67
	v_mul_f32_e32 v100, v100, v132                             // 000000004A70: 0AC90964
	v_mul_f32_e32 v101, v101, v133                             // 000000004A74: 0ACB0B65
	v_mul_f32_e32 v102, v102, v134                             // 000000004A78: 0ACD0D66
	v_mul_f32_e32 v103, v103, v135                             // 000000004A7C: 0ACF0F67
	v_mul_f32_e64 v4, -v104, s6                                // 000000004A80: D1050004 20000D68
	v_mul_f32_e64 v5, -v105, s6                                // 000000004A88: D1050005 20000D69
	v_mul_f32_e64 v6, -v106, s6                                // 000000004A90: D1050006 20000D6A
	v_mul_f32_e64 v7, -v107, s6                                // 000000004A98: D1050007 20000D6B
	v_exp_f32_e32 v4, v4                                       // 000000004AA0: 7E084104
	v_exp_f32_e32 v5, v5                                       // 000000004AA4: 7E0A4105
	v_exp_f32_e32 v6, v6                                       // 000000004AA8: 7E0C4106
	v_exp_f32_e32 v7, v7                                       // 000000004AAC: 7E0E4107
	v_add_f32_e64 v4, v4, 1.0                                  // 000000004AB0: D1010004 0001E504
	v_add_f32_e64 v5, v5, 1.0                                  // 000000004AB8: D1010005 0001E505
	v_add_f32_e64 v6, v6, 1.0                                  // 000000004AC0: D1010006 0001E506
	v_add_f32_e64 v7, v7, 1.0                                  // 000000004AC8: D1010007 0001E507
	v_rcp_f32_e32 v4, v4                                       // 000000004AD0: 7E084504
	v_rcp_f32_e32 v5, v5                                       // 000000004AD4: 7E0A4505
	v_rcp_f32_e32 v6, v6                                       // 000000004AD8: 7E0C4506
	v_rcp_f32_e32 v7, v7                                       // 000000004ADC: 7E0E4507
	v_mul_f32_e32 v104, v104, v4                               // 000000004AE0: 0AD00968
	v_mul_f32_e32 v105, v105, v5                               // 000000004AE4: 0AD20B69
	v_mul_f32_e32 v106, v106, v6                               // 000000004AE8: 0AD40D6A
	v_mul_f32_e32 v107, v107, v7                               // 000000004AEC: 0AD60F6B
	v_mul_f32_e32 v104, v104, v136                             // 000000004AF0: 0AD11168
	v_mul_f32_e32 v105, v105, v137                             // 000000004AF4: 0AD31369
	v_mul_f32_e32 v106, v106, v138                             // 000000004AF8: 0AD5156A
	v_mul_f32_e32 v107, v107, v139                             // 000000004AFC: 0AD7176B
	v_mul_f32_e64 v4, -v108, s6                                // 000000004B00: D1050004 20000D6C
	v_mul_f32_e64 v5, -v109, s6                                // 000000004B08: D1050005 20000D6D
	v_mul_f32_e64 v6, -v110, s6                                // 000000004B10: D1050006 20000D6E
	v_mul_f32_e64 v7, -v111, s6                                // 000000004B18: D1050007 20000D6F
	v_exp_f32_e32 v4, v4                                       // 000000004B20: 7E084104
	v_exp_f32_e32 v5, v5                                       // 000000004B24: 7E0A4105
	v_exp_f32_e32 v6, v6                                       // 000000004B28: 7E0C4106
	v_exp_f32_e32 v7, v7                                       // 000000004B2C: 7E0E4107
	v_add_f32_e64 v4, v4, 1.0                                  // 000000004B30: D1010004 0001E504
	v_add_f32_e64 v5, v5, 1.0                                  // 000000004B38: D1010005 0001E505
	v_add_f32_e64 v6, v6, 1.0                                  // 000000004B40: D1010006 0001E506
	v_add_f32_e64 v7, v7, 1.0                                  // 000000004B48: D1010007 0001E507
	v_rcp_f32_e32 v4, v4                                       // 000000004B50: 7E084504
	v_rcp_f32_e32 v5, v5                                       // 000000004B54: 7E0A4505
	v_rcp_f32_e32 v6, v6                                       // 000000004B58: 7E0C4506
	v_rcp_f32_e32 v7, v7                                       // 000000004B5C: 7E0E4507
	v_mul_f32_e32 v108, v108, v4                               // 000000004B60: 0AD8096C
	v_mul_f32_e32 v109, v109, v5                               // 000000004B64: 0ADA0B6D
	v_mul_f32_e32 v110, v110, v6                               // 000000004B68: 0ADC0D6E
	v_mul_f32_e32 v111, v111, v7                               // 000000004B6C: 0ADE0F6F
	v_mul_f32_e32 v108, v108, v140                             // 000000004B70: 0AD9196C
	v_mul_f32_e32 v109, v109, v141                             // 000000004B74: 0ADB1B6D
	v_mul_f32_e32 v110, v110, v142                             // 000000004B78: 0ADD1D6E
	v_mul_f32_e32 v111, v111, v143                             // 000000004B7C: 0ADF1F6F

0000000000004b80 <label_0860>:
	v_cmp_u_f32_e64 s[46:47], v80, v80                         // 000000004B80: D048002E 0002A150
	v_add3_u32 v16, v80, v19, 1                                // 000000004B88: D1FF0010 02062750
	v_cndmask_b32_e64 v4, v16, v18, s[46:47]                   // 000000004B90: D1000004 00BA2510
	v_cmp_u_f32_e64 s[46:47], v81, v81                         // 000000004B98: D048002E 0002A351
	v_add3_u32 v16, v81, v19, 1                                // 000000004BA0: D1FF0010 02062751
	v_cndmask_b32_e64 v5, v16, v18, s[46:47]                   // 000000004BA8: D1000005 00BA2510
	v_perm_b32 v80, v5, v4, s52                                // 000000004BB0: D1ED0050 00D20905
	v_cmp_u_f32_e64 s[46:47], v82, v82                         // 000000004BB8: D048002E 0002A552
	v_add3_u32 v16, v82, v19, 1                                // 000000004BC0: D1FF0010 02062752
	v_cndmask_b32_e64 v4, v16, v18, s[46:47]                   // 000000004BC8: D1000004 00BA2510
	v_cmp_u_f32_e64 s[46:47], v83, v83                         // 000000004BD0: D048002E 0002A753
	v_add3_u32 v16, v83, v19, 1                                // 000000004BD8: D1FF0010 02062753
	v_cndmask_b32_e64 v5, v16, v18, s[46:47]                   // 000000004BE0: D1000005 00BA2510
	v_perm_b32 v81, v5, v4, s52                                // 000000004BE8: D1ED0051 00D20905
	v_cmp_u_f32_e64 s[46:47], v84, v84                         // 000000004BF0: D048002E 0002A954
	v_add3_u32 v16, v84, v19, 1                                // 000000004BF8: D1FF0010 02062754
	v_cndmask_b32_e64 v4, v16, v18, s[46:47]                   // 000000004C00: D1000004 00BA2510
	v_cmp_u_f32_e64 s[46:47], v85, v85                         // 000000004C08: D048002E 0002AB55
	v_add3_u32 v16, v85, v19, 1                                // 000000004C10: D1FF0010 02062755
	v_cndmask_b32_e64 v5, v16, v18, s[46:47]                   // 000000004C18: D1000005 00BA2510
	v_perm_b32 v82, v5, v4, s52                                // 000000004C20: D1ED0052 00D20905
	v_cmp_u_f32_e64 s[46:47], v86, v86                         // 000000004C28: D048002E 0002AD56
	v_add3_u32 v16, v86, v19, 1                                // 000000004C30: D1FF0010 02062756
	v_cndmask_b32_e64 v4, v16, v18, s[46:47]                   // 000000004C38: D1000004 00BA2510
	v_cmp_u_f32_e64 s[46:47], v87, v87                         // 000000004C40: D048002E 0002AF57
	v_add3_u32 v16, v87, v19, 1                                // 000000004C48: D1FF0010 02062757
	v_cndmask_b32_e64 v5, v16, v18, s[46:47]                   // 000000004C50: D1000005 00BA2510
	v_perm_b32 v83, v5, v4, s52                                // 000000004C58: D1ED0053 00D20905
	v_cmp_u_f32_e64 s[46:47], v88, v88                         // 000000004C60: D048002E 0002B158
	v_add3_u32 v16, v88, v19, 1                                // 000000004C68: D1FF0010 02062758
	v_cndmask_b32_e64 v4, v16, v18, s[46:47]                   // 000000004C70: D1000004 00BA2510
	v_cmp_u_f32_e64 s[46:47], v89, v89                         // 000000004C78: D048002E 0002B359
	v_add3_u32 v16, v89, v19, 1                                // 000000004C80: D1FF0010 02062759
	v_cndmask_b32_e64 v5, v16, v18, s[46:47]                   // 000000004C88: D1000005 00BA2510
	v_perm_b32 v84, v5, v4, s52                                // 000000004C90: D1ED0054 00D20905
	v_cmp_u_f32_e64 s[46:47], v90, v90                         // 000000004C98: D048002E 0002B55A
	v_add3_u32 v16, v90, v19, 1                                // 000000004CA0: D1FF0010 0206275A
	v_cndmask_b32_e64 v4, v16, v18, s[46:47]                   // 000000004CA8: D1000004 00BA2510
	v_cmp_u_f32_e64 s[46:47], v91, v91                         // 000000004CB0: D048002E 0002B75B
	v_add3_u32 v16, v91, v19, 1                                // 000000004CB8: D1FF0010 0206275B
	v_cndmask_b32_e64 v5, v16, v18, s[46:47]                   // 000000004CC0: D1000005 00BA2510
	v_perm_b32 v85, v5, v4, s52                                // 000000004CC8: D1ED0055 00D20905
	v_cmp_u_f32_e64 s[46:47], v92, v92                         // 000000004CD0: D048002E 0002B95C
	v_add3_u32 v16, v92, v19, 1                                // 000000004CD8: D1FF0010 0206275C
	v_cndmask_b32_e64 v4, v16, v18, s[46:47]                   // 000000004CE0: D1000004 00BA2510
	v_cmp_u_f32_e64 s[46:47], v93, v93                         // 000000004CE8: D048002E 0002BB5D
	v_add3_u32 v16, v93, v19, 1                                // 000000004CF0: D1FF0010 0206275D
	v_cndmask_b32_e64 v5, v16, v18, s[46:47]                   // 000000004CF8: D1000005 00BA2510
	v_perm_b32 v86, v5, v4, s52                                // 000000004D00: D1ED0056 00D20905
	v_cmp_u_f32_e64 s[46:47], v94, v94                         // 000000004D08: D048002E 0002BD5E
	v_add3_u32 v16, v94, v19, 1                                // 000000004D10: D1FF0010 0206275E
	v_cndmask_b32_e64 v4, v16, v18, s[46:47]                   // 000000004D18: D1000004 00BA2510
	v_cmp_u_f32_e64 s[46:47], v95, v95                         // 000000004D20: D048002E 0002BF5F
	v_add3_u32 v16, v95, v19, 1                                // 000000004D28: D1FF0010 0206275F
	v_cndmask_b32_e64 v5, v16, v18, s[46:47]                   // 000000004D30: D1000005 00BA2510
	v_perm_b32 v87, v5, v4, s52                                // 000000004D38: D1ED0057 00D20905
	v_cmp_u_f32_e64 s[46:47], v96, v96                         // 000000004D40: D048002E 0002C160
	v_add3_u32 v16, v96, v19, 1                                // 000000004D48: D1FF0010 02062760
	v_cndmask_b32_e64 v4, v16, v18, s[46:47]                   // 000000004D50: D1000004 00BA2510
	v_cmp_u_f32_e64 s[46:47], v97, v97                         // 000000004D58: D048002E 0002C361
	v_add3_u32 v16, v97, v19, 1                                // 000000004D60: D1FF0010 02062761
	v_cndmask_b32_e64 v5, v16, v18, s[46:47]                   // 000000004D68: D1000005 00BA2510
	v_perm_b32 v88, v5, v4, s52                                // 000000004D70: D1ED0058 00D20905
	v_cmp_u_f32_e64 s[46:47], v98, v98                         // 000000004D78: D048002E 0002C562
	v_add3_u32 v16, v98, v19, 1                                // 000000004D80: D1FF0010 02062762
	v_cndmask_b32_e64 v4, v16, v18, s[46:47]                   // 000000004D88: D1000004 00BA2510
	v_cmp_u_f32_e64 s[46:47], v99, v99                         // 000000004D90: D048002E 0002C763
	v_add3_u32 v16, v99, v19, 1                                // 000000004D98: D1FF0010 02062763
	v_cndmask_b32_e64 v5, v16, v18, s[46:47]                   // 000000004DA0: D1000005 00BA2510
	v_perm_b32 v89, v5, v4, s52                                // 000000004DA8: D1ED0059 00D20905
	v_cmp_u_f32_e64 s[46:47], v100, v100                       // 000000004DB0: D048002E 0002C964
	v_add3_u32 v16, v100, v19, 1                               // 000000004DB8: D1FF0010 02062764
	v_cndmask_b32_e64 v4, v16, v18, s[46:47]                   // 000000004DC0: D1000004 00BA2510
	v_cmp_u_f32_e64 s[46:47], v101, v101                       // 000000004DC8: D048002E 0002CB65
	v_add3_u32 v16, v101, v19, 1                               // 000000004DD0: D1FF0010 02062765
	v_cndmask_b32_e64 v5, v16, v18, s[46:47]                   // 000000004DD8: D1000005 00BA2510
	v_perm_b32 v90, v5, v4, s52                                // 000000004DE0: D1ED005A 00D20905
	v_cmp_u_f32_e64 s[46:47], v102, v102                       // 000000004DE8: D048002E 0002CD66
	v_add3_u32 v16, v102, v19, 1                               // 000000004DF0: D1FF0010 02062766
	v_cndmask_b32_e64 v4, v16, v18, s[46:47]                   // 000000004DF8: D1000004 00BA2510
	v_cmp_u_f32_e64 s[46:47], v103, v103                       // 000000004E00: D048002E 0002CF67
	v_add3_u32 v16, v103, v19, 1                               // 000000004E08: D1FF0010 02062767
	v_cndmask_b32_e64 v5, v16, v18, s[46:47]                   // 000000004E10: D1000005 00BA2510
	v_perm_b32 v91, v5, v4, s52                                // 000000004E18: D1ED005B 00D20905
	v_cmp_u_f32_e64 s[46:47], v104, v104                       // 000000004E20: D048002E 0002D168
	v_add3_u32 v16, v104, v19, 1                               // 000000004E28: D1FF0010 02062768
	v_cndmask_b32_e64 v4, v16, v18, s[46:47]                   // 000000004E30: D1000004 00BA2510
	v_cmp_u_f32_e64 s[46:47], v105, v105                       // 000000004E38: D048002E 0002D369
	v_add3_u32 v16, v105, v19, 1                               // 000000004E40: D1FF0010 02062769
	v_cndmask_b32_e64 v5, v16, v18, s[46:47]                   // 000000004E48: D1000005 00BA2510
	v_perm_b32 v92, v5, v4, s52                                // 000000004E50: D1ED005C 00D20905
	v_cmp_u_f32_e64 s[46:47], v106, v106                       // 000000004E58: D048002E 0002D56A
	v_add3_u32 v16, v106, v19, 1                               // 000000004E60: D1FF0010 0206276A
	v_cndmask_b32_e64 v4, v16, v18, s[46:47]                   // 000000004E68: D1000004 00BA2510
	v_cmp_u_f32_e64 s[46:47], v107, v107                       // 000000004E70: D048002E 0002D76B
	v_add3_u32 v16, v107, v19, 1                               // 000000004E78: D1FF0010 0206276B
	v_cndmask_b32_e64 v5, v16, v18, s[46:47]                   // 000000004E80: D1000005 00BA2510
	v_perm_b32 v93, v5, v4, s52                                // 000000004E88: D1ED005D 00D20905
	v_cmp_u_f32_e64 s[46:47], v108, v108                       // 000000004E90: D048002E 0002D96C
	v_add3_u32 v16, v108, v19, 1                               // 000000004E98: D1FF0010 0206276C
	v_cndmask_b32_e64 v4, v16, v18, s[46:47]                   // 000000004EA0: D1000004 00BA2510
	v_cmp_u_f32_e64 s[46:47], v109, v109                       // 000000004EA8: D048002E 0002DB6D
	v_add3_u32 v16, v109, v19, 1                               // 000000004EB0: D1FF0010 0206276D
	v_cndmask_b32_e64 v5, v16, v18, s[46:47]                   // 000000004EB8: D1000005 00BA2510
	v_perm_b32 v94, v5, v4, s52                                // 000000004EC0: D1ED005E 00D20905
	v_cmp_u_f32_e64 s[46:47], v110, v110                       // 000000004EC8: D048002E 0002DD6E
	v_add3_u32 v16, v110, v19, 1                               // 000000004ED0: D1FF0010 0206276E
	v_cndmask_b32_e64 v4, v16, v18, s[46:47]                   // 000000004ED8: D1000004 00BA2510
	v_cmp_u_f32_e64 s[46:47], v111, v111                       // 000000004EE0: D048002E 0002DF6F
	v_add3_u32 v16, v111, v19, 1                               // 000000004EE8: D1FF0010 0206276F
	v_cndmask_b32_e64 v5, v16, v18, s[46:47]                   // 000000004EF0: D1000005 00BA2510
	v_perm_b32 v95, v5, v4, s52                                // 000000004EF8: D1ED005F 00D20905
	ds_write_b64 v20, v[80:81]                                 // 000000004F00: D89A0000 00005014
	ds_write_b64 v20, v[82:83] offset:2176                     // 000000004F08: D89A0880 00005214
	ds_write_b64 v20, v[84:85] offset:4352                     // 000000004F10: D89A1100 00005414
	ds_write_b64 v20, v[86:87] offset:6528                     // 000000004F18: D89A1980 00005614
	ds_write_b64 v20, v[88:89] offset:8704                     // 000000004F20: D89A2200 00005814
	ds_write_b64 v20, v[90:91] offset:10880                    // 000000004F28: D89A2A80 00005A14
	ds_write_b64 v20, v[92:93] offset:13056                    // 000000004F30: D89A3300 00005C14
	ds_write_b64 v20, v[94:95] offset:15232                    // 000000004F38: D89A3B80 00005E14
	v_lshrrev_b32_e32 v4, 5, v0                                // 000000004F40: 20080085
	v_xor_b32_e32 v5, 1, v4                                    // 000000004F44: 2A0A0881
	s_mul_i32 s60, s65, 2                                      // 000000004F48: 923C8241
	s_cmp_eq_u32 s88, 0                                        // 000000004F4C: BF068058
	s_cselect_b32 s61, 1, 4                                    // 000000004F50: 853D8481
	s_mul_i32 s60, s61, s60                                    // 000000004F54: 923C3C3D
	v_readlane_b32 s82, v3, 0                                  // 000000004F58: D2890052 00010103
	s_lshr_b32 s61, s82, 24                                    // 000000004F60: 8F3D9852
	s_and_b32 s82, s82, 0xffffff                               // 000000004F64: 8652FF52 00FFFFFF
	s_mul_i32 s82, s82, s71                                    // 000000004F6C: 92524752
	s_mul_i32 s61, s60, s61                                    // 000000004F70: 923D3D3C
	s_add_u32 s82, s82, s61                                    // 000000004F74: 80523D52
	v_mul_lo_u32 v6, v5, s82                                   // 000000004F78: D2850006 0000A505
	v_readlane_b32 s82, v3, 1                                  // 000000004F80: D2890052 00010303
	s_lshr_b32 s61, s82, 24                                    // 000000004F88: 8F3D9852
	s_and_b32 s82, s82, 0xffffff                               // 000000004F8C: 8652FF52 00FFFFFF
	s_mul_i32 s82, s82, s71                                    // 000000004F94: 92524752
	s_mul_i32 s61, s60, s61                                    // 000000004F98: 923D3D3C
	s_add_u32 s82, s82, s61                                    // 000000004F9C: 80523D52
	v_mul_lo_u32 v7, v4, s82                                   // 000000004FA0: D2850007 0000A504
	v_add_u32_e32 v60, v6, v7                                  // 000000004FA8: 68780F06
	v_readlane_b32 s82, v3, 2                                  // 000000004FAC: D2890052 00010503
	s_lshr_b32 s61, s82, 24                                    // 000000004FB4: 8F3D9852
	s_and_b32 s82, s82, 0xffffff                               // 000000004FB8: 8652FF52 00FFFFFF
	s_mul_i32 s82, s82, s71                                    // 000000004FC0: 92524752
	s_mul_i32 s61, s60, s61                                    // 000000004FC4: 923D3D3C
	s_add_u32 s82, s82, s61                                    // 000000004FC8: 80523D52
	v_mul_lo_u32 v6, v5, s82                                   // 000000004FCC: D2850006 0000A505
	v_readlane_b32 s82, v3, 3                                  // 000000004FD4: D2890052 00010703
	s_lshr_b32 s61, s82, 24                                    // 000000004FDC: 8F3D9852
	s_and_b32 s82, s82, 0xffffff                               // 000000004FE0: 8652FF52 00FFFFFF
	s_mul_i32 s82, s82, s71                                    // 000000004FE8: 92524752
	s_mul_i32 s61, s60, s61                                    // 000000004FEC: 923D3D3C
	s_add_u32 s82, s82, s61                                    // 000000004FF0: 80523D52
	v_mul_lo_u32 v7, v4, s82                                   // 000000004FF4: D2850007 0000A504
	v_add_u32_e32 v61, v6, v7                                  // 000000004FFC: 687A0F06
	v_readlane_b32 s82, v3, 4                                  // 000000005000: D2890052 00010903
	s_lshr_b32 s61, s82, 24                                    // 000000005008: 8F3D9852
	s_and_b32 s82, s82, 0xffffff                               // 00000000500C: 8652FF52 00FFFFFF
	s_mul_i32 s82, s82, s71                                    // 000000005014: 92524752
	s_mul_i32 s61, s60, s61                                    // 000000005018: 923D3D3C
	s_add_u32 s82, s82, s61                                    // 00000000501C: 80523D52
	v_mul_lo_u32 v6, v5, s82                                   // 000000005020: D2850006 0000A505
	v_readlane_b32 s82, v3, 5                                  // 000000005028: D2890052 00010B03
	s_lshr_b32 s61, s82, 24                                    // 000000005030: 8F3D9852
	s_and_b32 s82, s82, 0xffffff                               // 000000005034: 8652FF52 00FFFFFF
	s_mul_i32 s82, s82, s71                                    // 00000000503C: 92524752
	s_mul_i32 s61, s60, s61                                    // 000000005040: 923D3D3C
	s_add_u32 s82, s82, s61                                    // 000000005044: 80523D52
	v_mul_lo_u32 v7, v4, s82                                   // 000000005048: D2850007 0000A504
	v_add_u32_e32 v62, v6, v7                                  // 000000005050: 687C0F06
	v_readlane_b32 s82, v3, 6                                  // 000000005054: D2890052 00010D03
	s_lshr_b32 s61, s82, 24                                    // 00000000505C: 8F3D9852
	s_and_b32 s82, s82, 0xffffff                               // 000000005060: 8652FF52 00FFFFFF
	s_mul_i32 s82, s82, s71                                    // 000000005068: 92524752
	s_mul_i32 s61, s60, s61                                    // 00000000506C: 923D3D3C
	s_add_u32 s82, s82, s61                                    // 000000005070: 80523D52
	v_mul_lo_u32 v6, v5, s82                                   // 000000005074: D2850006 0000A505
	v_readlane_b32 s82, v3, 7                                  // 00000000507C: D2890052 00010F03
	s_lshr_b32 s61, s82, 24                                    // 000000005084: 8F3D9852
	s_and_b32 s82, s82, 0xffffff                               // 000000005088: 8652FF52 00FFFFFF
	s_mul_i32 s82, s82, s71                                    // 000000005090: 92524752
	s_mul_i32 s61, s60, s61                                    // 000000005094: 923D3D3C
	s_add_u32 s82, s82, s61                                    // 000000005098: 80523D52
	v_mul_lo_u32 v7, v4, s82                                   // 00000000509C: D2850007 0000A504
	v_add_u32_e32 v63, v6, v7                                  // 0000000050A4: 687E0F06
	v_readlane_b32 s82, v3, 8                                  // 0000000050A8: D2890052 00011103
	s_lshr_b32 s61, s82, 24                                    // 0000000050B0: 8F3D9852
	s_and_b32 s82, s82, 0xffffff                               // 0000000050B4: 8652FF52 00FFFFFF
	s_mul_i32 s82, s82, s71                                    // 0000000050BC: 92524752
	s_mul_i32 s61, s60, s61                                    // 0000000050C0: 923D3D3C
	s_add_u32 s82, s82, s61                                    // 0000000050C4: 80523D52
	v_mul_lo_u32 v6, v5, s82                                   // 0000000050C8: D2850006 0000A505
	v_readlane_b32 s82, v3, 9                                  // 0000000050D0: D2890052 00011303
	s_lshr_b32 s61, s82, 24                                    // 0000000050D8: 8F3D9852
	s_and_b32 s82, s82, 0xffffff                               // 0000000050DC: 8652FF52 00FFFFFF
	s_mul_i32 s82, s82, s71                                    // 0000000050E4: 92524752
	s_mul_i32 s61, s60, s61                                    // 0000000050E8: 923D3D3C
	s_add_u32 s82, s82, s61                                    // 0000000050EC: 80523D52
	v_mul_lo_u32 v7, v4, s82                                   // 0000000050F0: D2850007 0000A504
	v_add_u32_e32 v64, v6, v7                                  // 0000000050F8: 68800F06
	v_readlane_b32 s82, v3, 10                                 // 0000000050FC: D2890052 00011503
	s_lshr_b32 s61, s82, 24                                    // 000000005104: 8F3D9852
	s_and_b32 s82, s82, 0xffffff                               // 000000005108: 8652FF52 00FFFFFF
	s_mul_i32 s82, s82, s71                                    // 000000005110: 92524752
	s_mul_i32 s61, s60, s61                                    // 000000005114: 923D3D3C
	s_add_u32 s82, s82, s61                                    // 000000005118: 80523D52
	v_mul_lo_u32 v6, v5, s82                                   // 00000000511C: D2850006 0000A505
	v_readlane_b32 s82, v3, 11                                 // 000000005124: D2890052 00011703
	s_lshr_b32 s61, s82, 24                                    // 00000000512C: 8F3D9852
	s_and_b32 s82, s82, 0xffffff                               // 000000005130: 8652FF52 00FFFFFF
	s_mul_i32 s82, s82, s71                                    // 000000005138: 92524752
	s_mul_i32 s61, s60, s61                                    // 00000000513C: 923D3D3C
	s_add_u32 s82, s82, s61                                    // 000000005140: 80523D52
	v_mul_lo_u32 v7, v4, s82                                   // 000000005144: D2850007 0000A504
	v_add_u32_e32 v65, v6, v7                                  // 00000000514C: 68820F06
	v_readlane_b32 s82, v3, 12                                 // 000000005150: D2890052 00011903
	s_lshr_b32 s61, s82, 24                                    // 000000005158: 8F3D9852
	s_and_b32 s82, s82, 0xffffff                               // 00000000515C: 8652FF52 00FFFFFF
	s_mul_i32 s82, s82, s71                                    // 000000005164: 92524752
	s_mul_i32 s61, s60, s61                                    // 000000005168: 923D3D3C
	s_add_u32 s82, s82, s61                                    // 00000000516C: 80523D52
	v_mul_lo_u32 v6, v5, s82                                   // 000000005170: D2850006 0000A505
	v_readlane_b32 s82, v3, 13                                 // 000000005178: D2890052 00011B03
	s_lshr_b32 s61, s82, 24                                    // 000000005180: 8F3D9852
	s_and_b32 s82, s82, 0xffffff                               // 000000005184: 8652FF52 00FFFFFF
	s_mul_i32 s82, s82, s71                                    // 00000000518C: 92524752
	s_mul_i32 s61, s60, s61                                    // 000000005190: 923D3D3C
	s_add_u32 s82, s82, s61                                    // 000000005194: 80523D52
	v_mul_lo_u32 v7, v4, s82                                   // 000000005198: D2850007 0000A504
	v_add_u32_e32 v66, v6, v7                                  // 0000000051A0: 68840F06
	v_readlane_b32 s82, v3, 14                                 // 0000000051A4: D2890052 00011D03
	s_lshr_b32 s61, s82, 24                                    // 0000000051AC: 8F3D9852
	s_and_b32 s82, s82, 0xffffff                               // 0000000051B0: 8652FF52 00FFFFFF
	s_mul_i32 s82, s82, s71                                    // 0000000051B8: 92524752
	s_mul_i32 s61, s60, s61                                    // 0000000051BC: 923D3D3C
	s_add_u32 s82, s82, s61                                    // 0000000051C0: 80523D52
	v_mul_lo_u32 v6, v5, s82                                   // 0000000051C4: D2850006 0000A505
	v_readlane_b32 s82, v3, 15                                 // 0000000051CC: D2890052 00011F03
	s_lshr_b32 s61, s82, 24                                    // 0000000051D4: 8F3D9852
	s_and_b32 s82, s82, 0xffffff                               // 0000000051D8: 8652FF52 00FFFFFF
	s_mul_i32 s82, s82, s71                                    // 0000000051E0: 92524752
	s_mul_i32 s61, s60, s61                                    // 0000000051E4: 923D3D3C
	s_add_u32 s82, s82, s61                                    // 0000000051E8: 80523D52
	v_mul_lo_u32 v7, v4, s82                                   // 0000000051EC: D2850007 0000A504
	v_add_u32_e32 v67, v6, v7                                  // 0000000051F4: 68860F06
	v_readlane_b32 s82, v3, 16                                 // 0000000051F8: D2890052 00012103
	s_lshr_b32 s61, s82, 24                                    // 000000005200: 8F3D9852
	s_and_b32 s82, s82, 0xffffff                               // 000000005204: 8652FF52 00FFFFFF
	s_mul_i32 s82, s82, s71                                    // 00000000520C: 92524752
	s_mul_i32 s61, s60, s61                                    // 000000005210: 923D3D3C
	s_add_u32 s82, s82, s61                                    // 000000005214: 80523D52
	v_mul_lo_u32 v6, v5, s82                                   // 000000005218: D2850006 0000A505
	v_readlane_b32 s82, v3, 17                                 // 000000005220: D2890052 00012303
	s_lshr_b32 s61, s82, 24                                    // 000000005228: 8F3D9852
	s_and_b32 s82, s82, 0xffffff                               // 00000000522C: 8652FF52 00FFFFFF
	s_mul_i32 s82, s82, s71                                    // 000000005234: 92524752
	s_mul_i32 s61, s60, s61                                    // 000000005238: 923D3D3C
	s_add_u32 s82, s82, s61                                    // 00000000523C: 80523D52
	v_mul_lo_u32 v7, v4, s82                                   // 000000005240: D2850007 0000A504
	v_add_u32_e32 v68, v6, v7                                  // 000000005248: 68880F06
	v_readlane_b32 s82, v3, 18                                 // 00000000524C: D2890052 00012503
	s_lshr_b32 s61, s82, 24                                    // 000000005254: 8F3D9852
	s_and_b32 s82, s82, 0xffffff                               // 000000005258: 8652FF52 00FFFFFF
	s_mul_i32 s82, s82, s71                                    // 000000005260: 92524752
	s_mul_i32 s61, s60, s61                                    // 000000005264: 923D3D3C
	s_add_u32 s82, s82, s61                                    // 000000005268: 80523D52
	v_mul_lo_u32 v6, v5, s82                                   // 00000000526C: D2850006 0000A505
	v_readlane_b32 s82, v3, 19                                 // 000000005274: D2890052 00012703
	s_lshr_b32 s61, s82, 24                                    // 00000000527C: 8F3D9852
	s_and_b32 s82, s82, 0xffffff                               // 000000005280: 8652FF52 00FFFFFF
	s_mul_i32 s82, s82, s71                                    // 000000005288: 92524752
	s_mul_i32 s61, s60, s61                                    // 00000000528C: 923D3D3C
	s_add_u32 s82, s82, s61                                    // 000000005290: 80523D52
	v_mul_lo_u32 v7, v4, s82                                   // 000000005294: D2850007 0000A504
	v_add_u32_e32 v69, v6, v7                                  // 00000000529C: 688A0F06
	v_readlane_b32 s82, v3, 20                                 // 0000000052A0: D2890052 00012903
	s_lshr_b32 s61, s82, 24                                    // 0000000052A8: 8F3D9852
	s_and_b32 s82, s82, 0xffffff                               // 0000000052AC: 8652FF52 00FFFFFF
	s_mul_i32 s82, s82, s71                                    // 0000000052B4: 92524752
	s_mul_i32 s61, s60, s61                                    // 0000000052B8: 923D3D3C
	s_add_u32 s82, s82, s61                                    // 0000000052BC: 80523D52
	v_mul_lo_u32 v6, v5, s82                                   // 0000000052C0: D2850006 0000A505
	v_readlane_b32 s82, v3, 21                                 // 0000000052C8: D2890052 00012B03
	s_lshr_b32 s61, s82, 24                                    // 0000000052D0: 8F3D9852
	s_and_b32 s82, s82, 0xffffff                               // 0000000052D4: 8652FF52 00FFFFFF
	s_mul_i32 s82, s82, s71                                    // 0000000052DC: 92524752
	s_mul_i32 s61, s60, s61                                    // 0000000052E0: 923D3D3C
	s_add_u32 s82, s82, s61                                    // 0000000052E4: 80523D52
	v_mul_lo_u32 v7, v4, s82                                   // 0000000052E8: D2850007 0000A504
	v_add_u32_e32 v70, v6, v7                                  // 0000000052F0: 688C0F06
	v_readlane_b32 s82, v3, 22                                 // 0000000052F4: D2890052 00012D03
	s_lshr_b32 s61, s82, 24                                    // 0000000052FC: 8F3D9852
	s_and_b32 s82, s82, 0xffffff                               // 000000005300: 8652FF52 00FFFFFF
	s_mul_i32 s82, s82, s71                                    // 000000005308: 92524752
	s_mul_i32 s61, s60, s61                                    // 00000000530C: 923D3D3C
	s_add_u32 s82, s82, s61                                    // 000000005310: 80523D52
	v_mul_lo_u32 v6, v5, s82                                   // 000000005314: D2850006 0000A505
	v_readlane_b32 s82, v3, 23                                 // 00000000531C: D2890052 00012F03
	s_lshr_b32 s61, s82, 24                                    // 000000005324: 8F3D9852
	s_and_b32 s82, s82, 0xffffff                               // 000000005328: 8652FF52 00FFFFFF
	s_mul_i32 s82, s82, s71                                    // 000000005330: 92524752
	s_mul_i32 s61, s60, s61                                    // 000000005334: 923D3D3C
	s_add_u32 s82, s82, s61                                    // 000000005338: 80523D52
	v_mul_lo_u32 v7, v4, s82                                   // 00000000533C: D2850007 0000A504
	v_add_u32_e32 v71, v6, v7                                  // 000000005344: 688E0F06
	v_readlane_b32 s82, v3, 24                                 // 000000005348: D2890052 00013103
	s_lshr_b32 s61, s82, 24                                    // 000000005350: 8F3D9852
	s_and_b32 s82, s82, 0xffffff                               // 000000005354: 8652FF52 00FFFFFF
	s_mul_i32 s82, s82, s71                                    // 00000000535C: 92524752
	s_mul_i32 s61, s60, s61                                    // 000000005360: 923D3D3C
	s_add_u32 s82, s82, s61                                    // 000000005364: 80523D52
	v_mul_lo_u32 v6, v5, s82                                   // 000000005368: D2850006 0000A505
	v_readlane_b32 s82, v3, 25                                 // 000000005370: D2890052 00013303
	s_lshr_b32 s61, s82, 24                                    // 000000005378: 8F3D9852
	s_and_b32 s82, s82, 0xffffff                               // 00000000537C: 8652FF52 00FFFFFF
	s_mul_i32 s82, s82, s71                                    // 000000005384: 92524752
	s_mul_i32 s61, s60, s61                                    // 000000005388: 923D3D3C
	s_add_u32 s82, s82, s61                                    // 00000000538C: 80523D52
	v_mul_lo_u32 v7, v4, s82                                   // 000000005390: D2850007 0000A504
	v_add_u32_e32 v72, v6, v7                                  // 000000005398: 68900F06
	v_readlane_b32 s82, v3, 26                                 // 00000000539C: D2890052 00013503
	s_lshr_b32 s61, s82, 24                                    // 0000000053A4: 8F3D9852
	s_and_b32 s82, s82, 0xffffff                               // 0000000053A8: 8652FF52 00FFFFFF
	s_mul_i32 s82, s82, s71                                    // 0000000053B0: 92524752
	s_mul_i32 s61, s60, s61                                    // 0000000053B4: 923D3D3C
	s_add_u32 s82, s82, s61                                    // 0000000053B8: 80523D52
	v_mul_lo_u32 v6, v5, s82                                   // 0000000053BC: D2850006 0000A505
	v_readlane_b32 s82, v3, 27                                 // 0000000053C4: D2890052 00013703
	s_lshr_b32 s61, s82, 24                                    // 0000000053CC: 8F3D9852
	s_and_b32 s82, s82, 0xffffff                               // 0000000053D0: 8652FF52 00FFFFFF
	s_mul_i32 s82, s82, s71                                    // 0000000053D8: 92524752
	s_mul_i32 s61, s60, s61                                    // 0000000053DC: 923D3D3C
	s_add_u32 s82, s82, s61                                    // 0000000053E0: 80523D52
	v_mul_lo_u32 v7, v4, s82                                   // 0000000053E4: D2850007 0000A504
	v_add_u32_e32 v73, v6, v7                                  // 0000000053EC: 68920F06
	v_readlane_b32 s82, v3, 28                                 // 0000000053F0: D2890052 00013903
	s_lshr_b32 s61, s82, 24                                    // 0000000053F8: 8F3D9852
	s_and_b32 s82, s82, 0xffffff                               // 0000000053FC: 8652FF52 00FFFFFF
	s_mul_i32 s82, s82, s71                                    // 000000005404: 92524752
	s_mul_i32 s61, s60, s61                                    // 000000005408: 923D3D3C
	s_add_u32 s82, s82, s61                                    // 00000000540C: 80523D52
	v_mul_lo_u32 v6, v5, s82                                   // 000000005410: D2850006 0000A505
	v_readlane_b32 s82, v3, 29                                 // 000000005418: D2890052 00013B03
	s_lshr_b32 s61, s82, 24                                    // 000000005420: 8F3D9852
	s_and_b32 s82, s82, 0xffffff                               // 000000005424: 8652FF52 00FFFFFF
	s_mul_i32 s82, s82, s71                                    // 00000000542C: 92524752
	s_mul_i32 s61, s60, s61                                    // 000000005430: 923D3D3C
	s_add_u32 s82, s82, s61                                    // 000000005434: 80523D52
	v_mul_lo_u32 v7, v4, s82                                   // 000000005438: D2850007 0000A504
	v_add_u32_e32 v74, v6, v7                                  // 000000005440: 68940F06
	v_readlane_b32 s82, v3, 30                                 // 000000005444: D2890052 00013D03
	s_lshr_b32 s61, s82, 24                                    // 00000000544C: 8F3D9852
	s_and_b32 s82, s82, 0xffffff                               // 000000005450: 8652FF52 00FFFFFF
	s_mul_i32 s82, s82, s71                                    // 000000005458: 92524752
	s_mul_i32 s61, s60, s61                                    // 00000000545C: 923D3D3C
	s_add_u32 s82, s82, s61                                    // 000000005460: 80523D52
	v_mul_lo_u32 v6, v5, s82                                   // 000000005464: D2850006 0000A505
	v_readlane_b32 s82, v3, 31                                 // 00000000546C: D2890052 00013F03
	s_lshr_b32 s61, s82, 24                                    // 000000005474: 8F3D9852
	s_and_b32 s82, s82, 0xffffff                               // 000000005478: 8652FF52 00FFFFFF
	s_mul_i32 s82, s82, s71                                    // 000000005480: 92524752
	s_mul_i32 s61, s60, s61                                    // 000000005484: 923D3D3C
	s_add_u32 s82, s82, s61                                    // 000000005488: 80523D52
	v_mul_lo_u32 v7, v4, s82                                   // 00000000548C: D2850007 0000A504
	v_add_u32_e32 v75, v6, v7                                  // 000000005494: 68960F06
	v_and_b32_e32 v4, 31, v0                                   // 000000005498: 2608009F
	v_lshrrev_b32_e32 v4, 1, v4                                // 00000000549C: 20080881
	s_cmp_eq_u32 s88, 0                                        // 0000000054A0: BF068058
	s_cselect_b32 s61, 2, 4                                    // 0000000054A4: 853D8482
	v_mul_lo_u32 v4, v4, s61                                   // 0000000054A8: D2850004 00007B04
	v_and_b32_e64 v5, v0, 1                                    // 0000000054B0: D1130005 00010300
	v_add_u32_e32 v4, v4, v5                                   // 0000000054B8: 68080B04
	v_lshlrev_b32_e32 v4, 2, v4                                // 0000000054BC: 24080882
	v_add_u32_e32 v60, v60, v4                                 // 0000000054C0: 6878093C
	v_add_u32_e32 v61, v61, v4                                 // 0000000054C4: 687A093D
	v_add_u32_e32 v62, v62, v4                                 // 0000000054C8: 687C093E
	v_add_u32_e32 v63, v63, v4                                 // 0000000054CC: 687E093F
	v_add_u32_e32 v64, v64, v4                                 // 0000000054D0: 68800940
	v_add_u32_e32 v65, v65, v4                                 // 0000000054D4: 68820941
	v_add_u32_e32 v66, v66, v4                                 // 0000000054D8: 68840942
	v_add_u32_e32 v67, v67, v4                                 // 0000000054DC: 68860943
	v_add_u32_e32 v68, v68, v4                                 // 0000000054E0: 68880944
	v_add_u32_e32 v69, v69, v4                                 // 0000000054E4: 688A0945
	v_add_u32_e32 v70, v70, v4                                 // 0000000054E8: 688C0946
	v_add_u32_e32 v71, v71, v4                                 // 0000000054EC: 688E0947
	v_add_u32_e32 v72, v72, v4                                 // 0000000054F0: 68900948
	v_add_u32_e32 v73, v73, v4                                 // 0000000054F4: 68920949
	v_add_u32_e32 v74, v74, v4                                 // 0000000054F8: 6894094A
	v_add_u32_e32 v75, v75, v4                                 // 0000000054FC: 6896094B
	s_waitcnt lgkmcnt(0)                                       // 000000005500: BF8CC07F
	s_barrier                                                  // 000000005504: BF8A0000
	ds_read_b32 v80, v21                                       // 000000005508: D86C0000 50000015
	ds_read_b32 v81, v21 offset:64                             // 000000005510: D86C0040 51000015
	ds_read_b32 v82, v21 offset:2176                           // 000000005518: D86C0880 52000015
	ds_read_b32 v83, v21 offset:2240                           // 000000005520: D86C08C0 53000015
	ds_read_b32 v84, v21 offset:4352                           // 000000005528: D86C1100 54000015
	ds_read_b32 v85, v21 offset:4416                           // 000000005530: D86C1140 55000015
	ds_read_b32 v86, v21 offset:6528                           // 000000005538: D86C1980 56000015
	ds_read_b32 v87, v21 offset:6592                           // 000000005540: D86C19C0 57000015
	ds_read_b32 v88, v21 offset:8704                           // 000000005548: D86C2200 58000015
	ds_read_b32 v89, v21 offset:8768                           // 000000005550: D86C2240 59000015
	ds_read_b32 v90, v21 offset:10880                          // 000000005558: D86C2A80 5A000015
	ds_read_b32 v91, v21 offset:10944                          // 000000005560: D86C2AC0 5B000015
	ds_read_b32 v92, v21 offset:13056                          // 000000005568: D86C3300 5C000015
	ds_read_b32 v93, v21 offset:13120                          // 000000005570: D86C3340 5D000015
	ds_read_b32 v94, v21 offset:15232                          // 000000005578: D86C3B80 5E000015
	ds_read_b32 v95, v21 offset:15296                          // 000000005580: D86C3BC0 5F000015
	s_waitcnt lgkmcnt(0)                                       // 000000005588: BF8CC07F
	s_mov_b32 s36, -1                                          // 00000000558C: BEA400C1
	s_mov_b32 s37, -1                                          // 000000005590: BEA500C1
	v_mov_b32_e32 v7, 0                                        // 000000005594: 7E0E0280
	s_or_b32 s9, s9, 0x40000                                   // 000000005598: 8709FF09 00040000
	s_mov_b64 exec, s[36:37]                                   // 0000000055A0: BEFE0124
	v_mov_b32_e32 v6, v60                                      // 0000000055A4: 7E0C033C
	s_mov_b64 s[60:61], 0                                      // 0000000055A8: BEBC0180
	v_readlane_b32 s82, v3, 0                                  // 0000000055AC: D2890052 00010103
	s_and_b32 s82, s82, 0xffffff                               // 0000000055B4: 8652FF52 00FFFFFF
	s_cmp_lt_u32 s82, s66                                      // 0000000055BC: BF0A4252
	s_cselect_b32 s20, s36, s60                                // 0000000055C0: 85143C24
	v_readlane_b32 s82, v3, 1                                  // 0000000055C4: D2890052 00010303
	s_and_b32 s82, s82, 0xffffff                               // 0000000055CC: 8652FF52 00FFFFFF
	s_cmp_lt_u32 s82, s66                                      // 0000000055D4: BF0A4252
	s_cselect_b32 s21, s36, s60                                // 0000000055D8: 85153C24
	s_mov_b64 exec, s[20:21]                                   // 0000000055DC: BEFE0114
	buffer_store_dword v80, v6, s[8:11], 0 offen               // 0000000055E0: E0701000 80025006
	s_mov_b64 exec, s[36:37]                                   // 0000000055E8: BEFE0124
	v_mov_b32_e32 v6, v61                                      // 0000000055EC: 7E0C033D
	s_mov_b64 s[60:61], 0                                      // 0000000055F0: BEBC0180
	v_readlane_b32 s82, v3, 2                                  // 0000000055F4: D2890052 00010503
	s_and_b32 s82, s82, 0xffffff                               // 0000000055FC: 8652FF52 00FFFFFF
	s_cmp_lt_u32 s82, s66                                      // 000000005604: BF0A4252
	s_cselect_b32 s20, s36, s60                                // 000000005608: 85143C24
	v_readlane_b32 s82, v3, 3                                  // 00000000560C: D2890052 00010703
	s_and_b32 s82, s82, 0xffffff                               // 000000005614: 8652FF52 00FFFFFF
	s_cmp_lt_u32 s82, s66                                      // 00000000561C: BF0A4252
	s_cselect_b32 s21, s36, s60                                // 000000005620: 85153C24
	s_mov_b64 exec, s[20:21]                                   // 000000005624: BEFE0114
	buffer_store_dword v81, v6, s[8:11], 0 offen               // 000000005628: E0701000 80025106
	s_mov_b64 exec, s[36:37]                                   // 000000005630: BEFE0124
	v_mov_b32_e32 v6, v62                                      // 000000005634: 7E0C033E
	s_mov_b64 s[60:61], 0                                      // 000000005638: BEBC0180
	v_readlane_b32 s82, v3, 4                                  // 00000000563C: D2890052 00010903
	s_and_b32 s82, s82, 0xffffff                               // 000000005644: 8652FF52 00FFFFFF
	s_cmp_lt_u32 s82, s66                                      // 00000000564C: BF0A4252
	s_cselect_b32 s20, s36, s60                                // 000000005650: 85143C24
	v_readlane_b32 s82, v3, 5                                  // 000000005654: D2890052 00010B03
	s_and_b32 s82, s82, 0xffffff                               // 00000000565C: 8652FF52 00FFFFFF
	s_cmp_lt_u32 s82, s66                                      // 000000005664: BF0A4252
	s_cselect_b32 s21, s36, s60                                // 000000005668: 85153C24
	s_mov_b64 exec, s[20:21]                                   // 00000000566C: BEFE0114
	buffer_store_dword v82, v6, s[8:11], 0 offen               // 000000005670: E0701000 80025206
	s_mov_b64 exec, s[36:37]                                   // 000000005678: BEFE0124
	v_mov_b32_e32 v6, v63                                      // 00000000567C: 7E0C033F
	s_mov_b64 s[60:61], 0                                      // 000000005680: BEBC0180
	v_readlane_b32 s82, v3, 6                                  // 000000005684: D2890052 00010D03
	s_and_b32 s82, s82, 0xffffff                               // 00000000568C: 8652FF52 00FFFFFF
	s_cmp_lt_u32 s82, s66                                      // 000000005694: BF0A4252
	s_cselect_b32 s20, s36, s60                                // 000000005698: 85143C24
	v_readlane_b32 s82, v3, 7                                  // 00000000569C: D2890052 00010F03
	s_and_b32 s82, s82, 0xffffff                               // 0000000056A4: 8652FF52 00FFFFFF
	s_cmp_lt_u32 s82, s66                                      // 0000000056AC: BF0A4252
	s_cselect_b32 s21, s36, s60                                // 0000000056B0: 85153C24
	s_mov_b64 exec, s[20:21]                                   // 0000000056B4: BEFE0114
	buffer_store_dword v83, v6, s[8:11], 0 offen               // 0000000056B8: E0701000 80025306
	s_mov_b64 exec, s[36:37]                                   // 0000000056C0: BEFE0124
	v_mov_b32_e32 v6, v64                                      // 0000000056C4: 7E0C0340
	s_mov_b64 s[60:61], 0                                      // 0000000056C8: BEBC0180
	v_readlane_b32 s82, v3, 8                                  // 0000000056CC: D2890052 00011103
	s_and_b32 s82, s82, 0xffffff                               // 0000000056D4: 8652FF52 00FFFFFF
	s_cmp_lt_u32 s82, s66                                      // 0000000056DC: BF0A4252
	s_cselect_b32 s20, s36, s60                                // 0000000056E0: 85143C24
	v_readlane_b32 s82, v3, 9                                  // 0000000056E4: D2890052 00011303
	s_and_b32 s82, s82, 0xffffff                               // 0000000056EC: 8652FF52 00FFFFFF
	s_cmp_lt_u32 s82, s66                                      // 0000000056F4: BF0A4252
	s_cselect_b32 s21, s36, s60                                // 0000000056F8: 85153C24
	s_mov_b64 exec, s[20:21]                                   // 0000000056FC: BEFE0114
	buffer_store_dword v84, v6, s[8:11], 0 offen               // 000000005700: E0701000 80025406
	s_mov_b64 exec, s[36:37]                                   // 000000005708: BEFE0124
	v_mov_b32_e32 v6, v65                                      // 00000000570C: 7E0C0341
	s_mov_b64 s[60:61], 0                                      // 000000005710: BEBC0180
	v_readlane_b32 s82, v3, 10                                 // 000000005714: D2890052 00011503
	s_and_b32 s82, s82, 0xffffff                               // 00000000571C: 8652FF52 00FFFFFF
	s_cmp_lt_u32 s82, s66                                      // 000000005724: BF0A4252
	s_cselect_b32 s20, s36, s60                                // 000000005728: 85143C24
	v_readlane_b32 s82, v3, 11                                 // 00000000572C: D2890052 00011703
	s_and_b32 s82, s82, 0xffffff                               // 000000005734: 8652FF52 00FFFFFF
	s_cmp_lt_u32 s82, s66                                      // 00000000573C: BF0A4252
	s_cselect_b32 s21, s36, s60                                // 000000005740: 85153C24
	s_mov_b64 exec, s[20:21]                                   // 000000005744: BEFE0114
	buffer_store_dword v85, v6, s[8:11], 0 offen               // 000000005748: E0701000 80025506
	s_mov_b64 exec, s[36:37]                                   // 000000005750: BEFE0124
	v_mov_b32_e32 v6, v66                                      // 000000005754: 7E0C0342
	s_mov_b64 s[60:61], 0                                      // 000000005758: BEBC0180
	v_readlane_b32 s82, v3, 12                                 // 00000000575C: D2890052 00011903
	s_and_b32 s82, s82, 0xffffff                               // 000000005764: 8652FF52 00FFFFFF
	s_cmp_lt_u32 s82, s66                                      // 00000000576C: BF0A4252
	s_cselect_b32 s20, s36, s60                                // 000000005770: 85143C24
	v_readlane_b32 s82, v3, 13                                 // 000000005774: D2890052 00011B03
	s_and_b32 s82, s82, 0xffffff                               // 00000000577C: 8652FF52 00FFFFFF
	s_cmp_lt_u32 s82, s66                                      // 000000005784: BF0A4252
	s_cselect_b32 s21, s36, s60                                // 000000005788: 85153C24
	s_mov_b64 exec, s[20:21]                                   // 00000000578C: BEFE0114
	buffer_store_dword v86, v6, s[8:11], 0 offen               // 000000005790: E0701000 80025606
	s_mov_b64 exec, s[36:37]                                   // 000000005798: BEFE0124
	v_mov_b32_e32 v6, v67                                      // 00000000579C: 7E0C0343
	s_mov_b64 s[60:61], 0                                      // 0000000057A0: BEBC0180
	v_readlane_b32 s82, v3, 14                                 // 0000000057A4: D2890052 00011D03
	s_and_b32 s82, s82, 0xffffff                               // 0000000057AC: 8652FF52 00FFFFFF
	s_cmp_lt_u32 s82, s66                                      // 0000000057B4: BF0A4252
	s_cselect_b32 s20, s36, s60                                // 0000000057B8: 85143C24
	v_readlane_b32 s82, v3, 15                                 // 0000000057BC: D2890052 00011F03
	s_and_b32 s82, s82, 0xffffff                               // 0000000057C4: 8652FF52 00FFFFFF
	s_cmp_lt_u32 s82, s66                                      // 0000000057CC: BF0A4252
	s_cselect_b32 s21, s36, s60                                // 0000000057D0: 85153C24
	s_mov_b64 exec, s[20:21]                                   // 0000000057D4: BEFE0114
	buffer_store_dword v87, v6, s[8:11], 0 offen               // 0000000057D8: E0701000 80025706
	s_mov_b64 exec, s[36:37]                                   // 0000000057E0: BEFE0124
	v_mov_b32_e32 v6, v68                                      // 0000000057E4: 7E0C0344
	s_mov_b64 s[60:61], 0                                      // 0000000057E8: BEBC0180
	v_readlane_b32 s82, v3, 16                                 // 0000000057EC: D2890052 00012103
	s_and_b32 s82, s82, 0xffffff                               // 0000000057F4: 8652FF52 00FFFFFF
	s_cmp_lt_u32 s82, s66                                      // 0000000057FC: BF0A4252
	s_cselect_b32 s20, s36, s60                                // 000000005800: 85143C24
	v_readlane_b32 s82, v3, 17                                 // 000000005804: D2890052 00012303
	s_and_b32 s82, s82, 0xffffff                               // 00000000580C: 8652FF52 00FFFFFF
	s_cmp_lt_u32 s82, s66                                      // 000000005814: BF0A4252
	s_cselect_b32 s21, s36, s60                                // 000000005818: 85153C24
	s_mov_b64 exec, s[20:21]                                   // 00000000581C: BEFE0114
	buffer_store_dword v88, v6, s[8:11], 0 offen               // 000000005820: E0701000 80025806
	s_mov_b64 exec, s[36:37]                                   // 000000005828: BEFE0124
	v_mov_b32_e32 v6, v69                                      // 00000000582C: 7E0C0345
	s_mov_b64 s[60:61], 0                                      // 000000005830: BEBC0180
	v_readlane_b32 s82, v3, 18                                 // 000000005834: D2890052 00012503
	s_and_b32 s82, s82, 0xffffff                               // 00000000583C: 8652FF52 00FFFFFF
	s_cmp_lt_u32 s82, s66                                      // 000000005844: BF0A4252
	s_cselect_b32 s20, s36, s60                                // 000000005848: 85143C24
	v_readlane_b32 s82, v3, 19                                 // 00000000584C: D2890052 00012703
	s_and_b32 s82, s82, 0xffffff                               // 000000005854: 8652FF52 00FFFFFF
	s_cmp_lt_u32 s82, s66                                      // 00000000585C: BF0A4252
	s_cselect_b32 s21, s36, s60                                // 000000005860: 85153C24
	s_mov_b64 exec, s[20:21]                                   // 000000005864: BEFE0114
	buffer_store_dword v89, v6, s[8:11], 0 offen               // 000000005868: E0701000 80025906
	s_mov_b64 exec, s[36:37]                                   // 000000005870: BEFE0124
	v_mov_b32_e32 v6, v70                                      // 000000005874: 7E0C0346
	s_mov_b64 s[60:61], 0                                      // 000000005878: BEBC0180
	v_readlane_b32 s82, v3, 20                                 // 00000000587C: D2890052 00012903
	s_and_b32 s82, s82, 0xffffff                               // 000000005884: 8652FF52 00FFFFFF
	s_cmp_lt_u32 s82, s66                                      // 00000000588C: BF0A4252
	s_cselect_b32 s20, s36, s60                                // 000000005890: 85143C24
	v_readlane_b32 s82, v3, 21                                 // 000000005894: D2890052 00012B03
	s_and_b32 s82, s82, 0xffffff                               // 00000000589C: 8652FF52 00FFFFFF
	s_cmp_lt_u32 s82, s66                                      // 0000000058A4: BF0A4252
	s_cselect_b32 s21, s36, s60                                // 0000000058A8: 85153C24
	s_mov_b64 exec, s[20:21]                                   // 0000000058AC: BEFE0114
	buffer_store_dword v90, v6, s[8:11], 0 offen               // 0000000058B0: E0701000 80025A06
	s_mov_b64 exec, s[36:37]                                   // 0000000058B8: BEFE0124
	v_mov_b32_e32 v6, v71                                      // 0000000058BC: 7E0C0347
	s_mov_b64 s[60:61], 0                                      // 0000000058C0: BEBC0180
	v_readlane_b32 s82, v3, 22                                 // 0000000058C4: D2890052 00012D03
	s_and_b32 s82, s82, 0xffffff                               // 0000000058CC: 8652FF52 00FFFFFF
	s_cmp_lt_u32 s82, s66                                      // 0000000058D4: BF0A4252
	s_cselect_b32 s20, s36, s60                                // 0000000058D8: 85143C24
	v_readlane_b32 s82, v3, 23                                 // 0000000058DC: D2890052 00012F03
	s_and_b32 s82, s82, 0xffffff                               // 0000000058E4: 8652FF52 00FFFFFF
	s_cmp_lt_u32 s82, s66                                      // 0000000058EC: BF0A4252
	s_cselect_b32 s21, s36, s60                                // 0000000058F0: 85153C24
	s_mov_b64 exec, s[20:21]                                   // 0000000058F4: BEFE0114
	buffer_store_dword v91, v6, s[8:11], 0 offen               // 0000000058F8: E0701000 80025B06
	s_mov_b64 exec, s[36:37]                                   // 000000005900: BEFE0124
	v_mov_b32_e32 v6, v72                                      // 000000005904: 7E0C0348
	s_mov_b64 s[60:61], 0                                      // 000000005908: BEBC0180
	v_readlane_b32 s82, v3, 24                                 // 00000000590C: D2890052 00013103
	s_and_b32 s82, s82, 0xffffff                               // 000000005914: 8652FF52 00FFFFFF
	s_cmp_lt_u32 s82, s66                                      // 00000000591C: BF0A4252
	s_cselect_b32 s20, s36, s60                                // 000000005920: 85143C24
	v_readlane_b32 s82, v3, 25                                 // 000000005924: D2890052 00013303
	s_and_b32 s82, s82, 0xffffff                               // 00000000592C: 8652FF52 00FFFFFF
	s_cmp_lt_u32 s82, s66                                      // 000000005934: BF0A4252
	s_cselect_b32 s21, s36, s60                                // 000000005938: 85153C24
	s_mov_b64 exec, s[20:21]                                   // 00000000593C: BEFE0114
	buffer_store_dword v92, v6, s[8:11], 0 offen               // 000000005940: E0701000 80025C06
	s_mov_b64 exec, s[36:37]                                   // 000000005948: BEFE0124
	v_mov_b32_e32 v6, v73                                      // 00000000594C: 7E0C0349
	s_mov_b64 s[60:61], 0                                      // 000000005950: BEBC0180
	v_readlane_b32 s82, v3, 26                                 // 000000005954: D2890052 00013503
	s_and_b32 s82, s82, 0xffffff                               // 00000000595C: 8652FF52 00FFFFFF
	s_cmp_lt_u32 s82, s66                                      // 000000005964: BF0A4252
	s_cselect_b32 s20, s36, s60                                // 000000005968: 85143C24
	v_readlane_b32 s82, v3, 27                                 // 00000000596C: D2890052 00013703
	s_and_b32 s82, s82, 0xffffff                               // 000000005974: 8652FF52 00FFFFFF
	s_cmp_lt_u32 s82, s66                                      // 00000000597C: BF0A4252
	s_cselect_b32 s21, s36, s60                                // 000000005980: 85153C24
	s_mov_b64 exec, s[20:21]                                   // 000000005984: BEFE0114
	buffer_store_dword v93, v6, s[8:11], 0 offen               // 000000005988: E0701000 80025D06
	s_mov_b64 exec, s[36:37]                                   // 000000005990: BEFE0124
	v_mov_b32_e32 v6, v74                                      // 000000005994: 7E0C034A
	s_mov_b64 s[60:61], 0                                      // 000000005998: BEBC0180
	v_readlane_b32 s82, v3, 28                                 // 00000000599C: D2890052 00013903
	s_and_b32 s82, s82, 0xffffff                               // 0000000059A4: 8652FF52 00FFFFFF
	s_cmp_lt_u32 s82, s66                                      // 0000000059AC: BF0A4252
	s_cselect_b32 s20, s36, s60                                // 0000000059B0: 85143C24
	v_readlane_b32 s82, v3, 29                                 // 0000000059B4: D2890052 00013B03
	s_and_b32 s82, s82, 0xffffff                               // 0000000059BC: 8652FF52 00FFFFFF
	s_cmp_lt_u32 s82, s66                                      // 0000000059C4: BF0A4252
	s_cselect_b32 s21, s36, s60                                // 0000000059C8: 85153C24
	s_mov_b64 exec, s[20:21]                                   // 0000000059CC: BEFE0114
	buffer_store_dword v94, v6, s[8:11], 0 offen               // 0000000059D0: E0701000 80025E06
	s_mov_b64 exec, s[36:37]                                   // 0000000059D8: BEFE0124
	v_mov_b32_e32 v6, v75                                      // 0000000059DC: 7E0C034B
	s_mov_b64 s[60:61], 0                                      // 0000000059E0: BEBC0180
	v_readlane_b32 s82, v3, 30                                 // 0000000059E4: D2890052 00013D03
	s_and_b32 s82, s82, 0xffffff                               // 0000000059EC: 8652FF52 00FFFFFF
	s_cmp_lt_u32 s82, s66                                      // 0000000059F4: BF0A4252
	s_cselect_b32 s20, s36, s60                                // 0000000059F8: 85143C24
	v_readlane_b32 s82, v3, 31                                 // 0000000059FC: D2890052 00013F03
	s_and_b32 s82, s82, 0xffffff                               // 000000005A04: 8652FF52 00FFFFFF
	s_cmp_lt_u32 s82, s66                                      // 000000005A0C: BF0A4252
	s_cselect_b32 s21, s36, s60                                // 000000005A10: 85153C24
	s_mov_b64 exec, s[20:21]                                   // 000000005A14: BEFE0114
	buffer_store_dword v95, v6, s[8:11], 0 offen               // 000000005A18: E0701000 80025F06
	s_mov_b64 exec, s[36:37]                                   // 000000005A20: BEFE0124
	s_branch label_2263                                        // 000000005A24: BF821656

0000000000005a28 <label_0C0A>:
	ds_write_b64 v20, v[80:81]                                 // 000000005A28: D89A0000 00005014
	ds_write_b64 v20, v[84:85] offset:2176                     // 000000005A30: D89A0880 00005414
	ds_write_b64 v20, v[88:89] offset:4352                     // 000000005A38: D89A1100 00005814
	ds_write_b64 v20, v[92:93] offset:6528                     // 000000005A40: D89A1980 00005C14
	ds_write_b64 v20, v[96:97] offset:8704                     // 000000005A48: D89A2200 00006014
	ds_write_b64 v20, v[100:101] offset:10880                  // 000000005A50: D89A2A80 00006414
	ds_write_b64 v20, v[104:105] offset:13056                  // 000000005A58: D89A3300 00006814
	ds_write_b64 v20, v[108:109] offset:15232                  // 000000005A60: D89A3B80 00006C14
	v_lshrrev_b32_e32 v4, 5, v0                                // 000000005A68: 20080085
	v_xor_b32_e32 v5, 1, v4                                    // 000000005A6C: 2A0A0881
	s_mul_i32 s60, s65, 2                                      // 000000005A70: 923C8241
	s_cmp_eq_u32 s88, 0                                        // 000000005A74: BF068058
	s_cselect_b32 s61, 1, 4                                    // 000000005A78: 853D8481
	s_mul_i32 s60, s61, s60                                    // 000000005A7C: 923C3C3D
	v_readlane_b32 s82, v3, 0                                  // 000000005A80: D2890052 00010103
	s_lshr_b32 s61, s82, 24                                    // 000000005A88: 8F3D9852
	s_and_b32 s82, s82, 0xffffff                               // 000000005A8C: 8652FF52 00FFFFFF
	s_mul_i32 s82, s82, s71                                    // 000000005A94: 92524752
	s_mul_i32 s61, s60, s61                                    // 000000005A98: 923D3D3C
	s_add_u32 s82, s82, s61                                    // 000000005A9C: 80523D52
	v_mul_lo_u32 v6, v5, s82                                   // 000000005AA0: D2850006 0000A505
	v_readlane_b32 s82, v3, 1                                  // 000000005AA8: D2890052 00010303
	s_lshr_b32 s61, s82, 24                                    // 000000005AB0: 8F3D9852
	s_and_b32 s82, s82, 0xffffff                               // 000000005AB4: 8652FF52 00FFFFFF
	s_mul_i32 s82, s82, s71                                    // 000000005ABC: 92524752
	s_mul_i32 s61, s60, s61                                    // 000000005AC0: 923D3D3C
	s_add_u32 s82, s82, s61                                    // 000000005AC4: 80523D52
	v_mul_lo_u32 v7, v4, s82                                   // 000000005AC8: D2850007 0000A504
	v_add_u32_e32 v60, v6, v7                                  // 000000005AD0: 68780F06
	v_readlane_b32 s82, v3, 2                                  // 000000005AD4: D2890052 00010503
	s_lshr_b32 s61, s82, 24                                    // 000000005ADC: 8F3D9852
	s_and_b32 s82, s82, 0xffffff                               // 000000005AE0: 8652FF52 00FFFFFF
	s_mul_i32 s82, s82, s71                                    // 000000005AE8: 92524752
	s_mul_i32 s61, s60, s61                                    // 000000005AEC: 923D3D3C
	s_add_u32 s82, s82, s61                                    // 000000005AF0: 80523D52
	v_mul_lo_u32 v6, v5, s82                                   // 000000005AF4: D2850006 0000A505
	v_readlane_b32 s82, v3, 3                                  // 000000005AFC: D2890052 00010703
	s_lshr_b32 s61, s82, 24                                    // 000000005B04: 8F3D9852
	s_and_b32 s82, s82, 0xffffff                               // 000000005B08: 8652FF52 00FFFFFF
	s_mul_i32 s82, s82, s71                                    // 000000005B10: 92524752
	s_mul_i32 s61, s60, s61                                    // 000000005B14: 923D3D3C
	s_add_u32 s82, s82, s61                                    // 000000005B18: 80523D52
	v_mul_lo_u32 v7, v4, s82                                   // 000000005B1C: D2850007 0000A504
	v_add_u32_e32 v61, v6, v7                                  // 000000005B24: 687A0F06
	v_readlane_b32 s82, v3, 4                                  // 000000005B28: D2890052 00010903
	s_lshr_b32 s61, s82, 24                                    // 000000005B30: 8F3D9852
	s_and_b32 s82, s82, 0xffffff                               // 000000005B34: 8652FF52 00FFFFFF
	s_mul_i32 s82, s82, s71                                    // 000000005B3C: 92524752
	s_mul_i32 s61, s60, s61                                    // 000000005B40: 923D3D3C
	s_add_u32 s82, s82, s61                                    // 000000005B44: 80523D52
	v_mul_lo_u32 v6, v5, s82                                   // 000000005B48: D2850006 0000A505
	v_readlane_b32 s82, v3, 5                                  // 000000005B50: D2890052 00010B03
	s_lshr_b32 s61, s82, 24                                    // 000000005B58: 8F3D9852
	s_and_b32 s82, s82, 0xffffff                               // 000000005B5C: 8652FF52 00FFFFFF
	s_mul_i32 s82, s82, s71                                    // 000000005B64: 92524752
	s_mul_i32 s61, s60, s61                                    // 000000005B68: 923D3D3C
	s_add_u32 s82, s82, s61                                    // 000000005B6C: 80523D52
	v_mul_lo_u32 v7, v4, s82                                   // 000000005B70: D2850007 0000A504
	v_add_u32_e32 v62, v6, v7                                  // 000000005B78: 687C0F06
	v_readlane_b32 s82, v3, 6                                  // 000000005B7C: D2890052 00010D03
	s_lshr_b32 s61, s82, 24                                    // 000000005B84: 8F3D9852
	s_and_b32 s82, s82, 0xffffff                               // 000000005B88: 8652FF52 00FFFFFF
	s_mul_i32 s82, s82, s71                                    // 000000005B90: 92524752
	s_mul_i32 s61, s60, s61                                    // 000000005B94: 923D3D3C
	s_add_u32 s82, s82, s61                                    // 000000005B98: 80523D52
	v_mul_lo_u32 v6, v5, s82                                   // 000000005B9C: D2850006 0000A505
	v_readlane_b32 s82, v3, 7                                  // 000000005BA4: D2890052 00010F03
	s_lshr_b32 s61, s82, 24                                    // 000000005BAC: 8F3D9852
	s_and_b32 s82, s82, 0xffffff                               // 000000005BB0: 8652FF52 00FFFFFF
	s_mul_i32 s82, s82, s71                                    // 000000005BB8: 92524752
	s_mul_i32 s61, s60, s61                                    // 000000005BBC: 923D3D3C
	s_add_u32 s82, s82, s61                                    // 000000005BC0: 80523D52
	v_mul_lo_u32 v7, v4, s82                                   // 000000005BC4: D2850007 0000A504
	v_add_u32_e32 v63, v6, v7                                  // 000000005BCC: 687E0F06
	v_readlane_b32 s82, v3, 8                                  // 000000005BD0: D2890052 00011103
	s_lshr_b32 s61, s82, 24                                    // 000000005BD8: 8F3D9852
	s_and_b32 s82, s82, 0xffffff                               // 000000005BDC: 8652FF52 00FFFFFF
	s_mul_i32 s82, s82, s71                                    // 000000005BE4: 92524752
	s_mul_i32 s61, s60, s61                                    // 000000005BE8: 923D3D3C
	s_add_u32 s82, s82, s61                                    // 000000005BEC: 80523D52
	v_mul_lo_u32 v6, v5, s82                                   // 000000005BF0: D2850006 0000A505
	v_readlane_b32 s82, v3, 9                                  // 000000005BF8: D2890052 00011303
	s_lshr_b32 s61, s82, 24                                    // 000000005C00: 8F3D9852
	s_and_b32 s82, s82, 0xffffff                               // 000000005C04: 8652FF52 00FFFFFF
	s_mul_i32 s82, s82, s71                                    // 000000005C0C: 92524752
	s_mul_i32 s61, s60, s61                                    // 000000005C10: 923D3D3C
	s_add_u32 s82, s82, s61                                    // 000000005C14: 80523D52
	v_mul_lo_u32 v7, v4, s82                                   // 000000005C18: D2850007 0000A504
	v_add_u32_e32 v64, v6, v7                                  // 000000005C20: 68800F06
	v_readlane_b32 s82, v3, 10                                 // 000000005C24: D2890052 00011503
	s_lshr_b32 s61, s82, 24                                    // 000000005C2C: 8F3D9852
	s_and_b32 s82, s82, 0xffffff                               // 000000005C30: 8652FF52 00FFFFFF
	s_mul_i32 s82, s82, s71                                    // 000000005C38: 92524752
	s_mul_i32 s61, s60, s61                                    // 000000005C3C: 923D3D3C
	s_add_u32 s82, s82, s61                                    // 000000005C40: 80523D52
	v_mul_lo_u32 v6, v5, s82                                   // 000000005C44: D2850006 0000A505
	v_readlane_b32 s82, v3, 11                                 // 000000005C4C: D2890052 00011703
	s_lshr_b32 s61, s82, 24                                    // 000000005C54: 8F3D9852
	s_and_b32 s82, s82, 0xffffff                               // 000000005C58: 8652FF52 00FFFFFF
	s_mul_i32 s82, s82, s71                                    // 000000005C60: 92524752
	s_mul_i32 s61, s60, s61                                    // 000000005C64: 923D3D3C
	s_add_u32 s82, s82, s61                                    // 000000005C68: 80523D52
	v_mul_lo_u32 v7, v4, s82                                   // 000000005C6C: D2850007 0000A504
	v_add_u32_e32 v65, v6, v7                                  // 000000005C74: 68820F06
	v_readlane_b32 s82, v3, 12                                 // 000000005C78: D2890052 00011903
	s_lshr_b32 s61, s82, 24                                    // 000000005C80: 8F3D9852
	s_and_b32 s82, s82, 0xffffff                               // 000000005C84: 8652FF52 00FFFFFF
	s_mul_i32 s82, s82, s71                                    // 000000005C8C: 92524752
	s_mul_i32 s61, s60, s61                                    // 000000005C90: 923D3D3C
	s_add_u32 s82, s82, s61                                    // 000000005C94: 80523D52
	v_mul_lo_u32 v6, v5, s82                                   // 000000005C98: D2850006 0000A505
	v_readlane_b32 s82, v3, 13                                 // 000000005CA0: D2890052 00011B03
	s_lshr_b32 s61, s82, 24                                    // 000000005CA8: 8F3D9852
	s_and_b32 s82, s82, 0xffffff                               // 000000005CAC: 8652FF52 00FFFFFF
	s_mul_i32 s82, s82, s71                                    // 000000005CB4: 92524752
	s_mul_i32 s61, s60, s61                                    // 000000005CB8: 923D3D3C
	s_add_u32 s82, s82, s61                                    // 000000005CBC: 80523D52
	v_mul_lo_u32 v7, v4, s82                                   // 000000005CC0: D2850007 0000A504
	v_add_u32_e32 v66, v6, v7                                  // 000000005CC8: 68840F06
	v_readlane_b32 s82, v3, 14                                 // 000000005CCC: D2890052 00011D03
	s_lshr_b32 s61, s82, 24                                    // 000000005CD4: 8F3D9852
	s_and_b32 s82, s82, 0xffffff                               // 000000005CD8: 8652FF52 00FFFFFF
	s_mul_i32 s82, s82, s71                                    // 000000005CE0: 92524752
	s_mul_i32 s61, s60, s61                                    // 000000005CE4: 923D3D3C
	s_add_u32 s82, s82, s61                                    // 000000005CE8: 80523D52
	v_mul_lo_u32 v6, v5, s82                                   // 000000005CEC: D2850006 0000A505
	v_readlane_b32 s82, v3, 15                                 // 000000005CF4: D2890052 00011F03
	s_lshr_b32 s61, s82, 24                                    // 000000005CFC: 8F3D9852
	s_and_b32 s82, s82, 0xffffff                               // 000000005D00: 8652FF52 00FFFFFF
	s_mul_i32 s82, s82, s71                                    // 000000005D08: 92524752
	s_mul_i32 s61, s60, s61                                    // 000000005D0C: 923D3D3C
	s_add_u32 s82, s82, s61                                    // 000000005D10: 80523D52
	v_mul_lo_u32 v7, v4, s82                                   // 000000005D14: D2850007 0000A504
	v_add_u32_e32 v67, v6, v7                                  // 000000005D1C: 68860F06
	v_readlane_b32 s82, v3, 16                                 // 000000005D20: D2890052 00012103
	s_lshr_b32 s61, s82, 24                                    // 000000005D28: 8F3D9852
	s_and_b32 s82, s82, 0xffffff                               // 000000005D2C: 8652FF52 00FFFFFF
	s_mul_i32 s82, s82, s71                                    // 000000005D34: 92524752
	s_mul_i32 s61, s60, s61                                    // 000000005D38: 923D3D3C
	s_add_u32 s82, s82, s61                                    // 000000005D3C: 80523D52
	v_mul_lo_u32 v6, v5, s82                                   // 000000005D40: D2850006 0000A505
	v_readlane_b32 s82, v3, 17                                 // 000000005D48: D2890052 00012303
	s_lshr_b32 s61, s82, 24                                    // 000000005D50: 8F3D9852
	s_and_b32 s82, s82, 0xffffff                               // 000000005D54: 8652FF52 00FFFFFF
	s_mul_i32 s82, s82, s71                                    // 000000005D5C: 92524752
	s_mul_i32 s61, s60, s61                                    // 000000005D60: 923D3D3C
	s_add_u32 s82, s82, s61                                    // 000000005D64: 80523D52
	v_mul_lo_u32 v7, v4, s82                                   // 000000005D68: D2850007 0000A504
	v_add_u32_e32 v68, v6, v7                                  // 000000005D70: 68880F06
	v_readlane_b32 s82, v3, 18                                 // 000000005D74: D2890052 00012503
	s_lshr_b32 s61, s82, 24                                    // 000000005D7C: 8F3D9852
	s_and_b32 s82, s82, 0xffffff                               // 000000005D80: 8652FF52 00FFFFFF
	s_mul_i32 s82, s82, s71                                    // 000000005D88: 92524752
	s_mul_i32 s61, s60, s61                                    // 000000005D8C: 923D3D3C
	s_add_u32 s82, s82, s61                                    // 000000005D90: 80523D52
	v_mul_lo_u32 v6, v5, s82                                   // 000000005D94: D2850006 0000A505
	v_readlane_b32 s82, v3, 19                                 // 000000005D9C: D2890052 00012703
	s_lshr_b32 s61, s82, 24                                    // 000000005DA4: 8F3D9852
	s_and_b32 s82, s82, 0xffffff                               // 000000005DA8: 8652FF52 00FFFFFF
	s_mul_i32 s82, s82, s71                                    // 000000005DB0: 92524752
	s_mul_i32 s61, s60, s61                                    // 000000005DB4: 923D3D3C
	s_add_u32 s82, s82, s61                                    // 000000005DB8: 80523D52
	v_mul_lo_u32 v7, v4, s82                                   // 000000005DBC: D2850007 0000A504
	v_add_u32_e32 v69, v6, v7                                  // 000000005DC4: 688A0F06
	v_readlane_b32 s82, v3, 20                                 // 000000005DC8: D2890052 00012903
	s_lshr_b32 s61, s82, 24                                    // 000000005DD0: 8F3D9852
	s_and_b32 s82, s82, 0xffffff                               // 000000005DD4: 8652FF52 00FFFFFF
	s_mul_i32 s82, s82, s71                                    // 000000005DDC: 92524752
	s_mul_i32 s61, s60, s61                                    // 000000005DE0: 923D3D3C
	s_add_u32 s82, s82, s61                                    // 000000005DE4: 80523D52
	v_mul_lo_u32 v6, v5, s82                                   // 000000005DE8: D2850006 0000A505
	v_readlane_b32 s82, v3, 21                                 // 000000005DF0: D2890052 00012B03
	s_lshr_b32 s61, s82, 24                                    // 000000005DF8: 8F3D9852
	s_and_b32 s82, s82, 0xffffff                               // 000000005DFC: 8652FF52 00FFFFFF
	s_mul_i32 s82, s82, s71                                    // 000000005E04: 92524752
	s_mul_i32 s61, s60, s61                                    // 000000005E08: 923D3D3C
	s_add_u32 s82, s82, s61                                    // 000000005E0C: 80523D52
	v_mul_lo_u32 v7, v4, s82                                   // 000000005E10: D2850007 0000A504
	v_add_u32_e32 v70, v6, v7                                  // 000000005E18: 688C0F06
	v_readlane_b32 s82, v3, 22                                 // 000000005E1C: D2890052 00012D03
	s_lshr_b32 s61, s82, 24                                    // 000000005E24: 8F3D9852
	s_and_b32 s82, s82, 0xffffff                               // 000000005E28: 8652FF52 00FFFFFF
	s_mul_i32 s82, s82, s71                                    // 000000005E30: 92524752
	s_mul_i32 s61, s60, s61                                    // 000000005E34: 923D3D3C
	s_add_u32 s82, s82, s61                                    // 000000005E38: 80523D52
	v_mul_lo_u32 v6, v5, s82                                   // 000000005E3C: D2850006 0000A505
	v_readlane_b32 s82, v3, 23                                 // 000000005E44: D2890052 00012F03
	s_lshr_b32 s61, s82, 24                                    // 000000005E4C: 8F3D9852
	s_and_b32 s82, s82, 0xffffff                               // 000000005E50: 8652FF52 00FFFFFF
	s_mul_i32 s82, s82, s71                                    // 000000005E58: 92524752
	s_mul_i32 s61, s60, s61                                    // 000000005E5C: 923D3D3C
	s_add_u32 s82, s82, s61                                    // 000000005E60: 80523D52
	v_mul_lo_u32 v7, v4, s82                                   // 000000005E64: D2850007 0000A504
	v_add_u32_e32 v71, v6, v7                                  // 000000005E6C: 688E0F06
	v_readlane_b32 s82, v3, 24                                 // 000000005E70: D2890052 00013103
	s_lshr_b32 s61, s82, 24                                    // 000000005E78: 8F3D9852
	s_and_b32 s82, s82, 0xffffff                               // 000000005E7C: 8652FF52 00FFFFFF
	s_mul_i32 s82, s82, s71                                    // 000000005E84: 92524752
	s_mul_i32 s61, s60, s61                                    // 000000005E88: 923D3D3C
	s_add_u32 s82, s82, s61                                    // 000000005E8C: 80523D52
	v_mul_lo_u32 v6, v5, s82                                   // 000000005E90: D2850006 0000A505
	v_readlane_b32 s82, v3, 25                                 // 000000005E98: D2890052 00013303
	s_lshr_b32 s61, s82, 24                                    // 000000005EA0: 8F3D9852
	s_and_b32 s82, s82, 0xffffff                               // 000000005EA4: 8652FF52 00FFFFFF
	s_mul_i32 s82, s82, s71                                    // 000000005EAC: 92524752
	s_mul_i32 s61, s60, s61                                    // 000000005EB0: 923D3D3C
	s_add_u32 s82, s82, s61                                    // 000000005EB4: 80523D52
	v_mul_lo_u32 v7, v4, s82                                   // 000000005EB8: D2850007 0000A504
	v_add_u32_e32 v72, v6, v7                                  // 000000005EC0: 68900F06
	v_readlane_b32 s82, v3, 26                                 // 000000005EC4: D2890052 00013503
	s_lshr_b32 s61, s82, 24                                    // 000000005ECC: 8F3D9852
	s_and_b32 s82, s82, 0xffffff                               // 000000005ED0: 8652FF52 00FFFFFF
	s_mul_i32 s82, s82, s71                                    // 000000005ED8: 92524752
	s_mul_i32 s61, s60, s61                                    // 000000005EDC: 923D3D3C
	s_add_u32 s82, s82, s61                                    // 000000005EE0: 80523D52
	v_mul_lo_u32 v6, v5, s82                                   // 000000005EE4: D2850006 0000A505
	v_readlane_b32 s82, v3, 27                                 // 000000005EEC: D2890052 00013703
	s_lshr_b32 s61, s82, 24                                    // 000000005EF4: 8F3D9852
	s_and_b32 s82, s82, 0xffffff                               // 000000005EF8: 8652FF52 00FFFFFF
	s_mul_i32 s82, s82, s71                                    // 000000005F00: 92524752
	s_mul_i32 s61, s60, s61                                    // 000000005F04: 923D3D3C
	s_add_u32 s82, s82, s61                                    // 000000005F08: 80523D52
	v_mul_lo_u32 v7, v4, s82                                   // 000000005F0C: D2850007 0000A504
	v_add_u32_e32 v73, v6, v7                                  // 000000005F14: 68920F06
	v_readlane_b32 s82, v3, 28                                 // 000000005F18: D2890052 00013903
	s_lshr_b32 s61, s82, 24                                    // 000000005F20: 8F3D9852
	s_and_b32 s82, s82, 0xffffff                               // 000000005F24: 8652FF52 00FFFFFF
	s_mul_i32 s82, s82, s71                                    // 000000005F2C: 92524752
	s_mul_i32 s61, s60, s61                                    // 000000005F30: 923D3D3C
	s_add_u32 s82, s82, s61                                    // 000000005F34: 80523D52
	v_mul_lo_u32 v6, v5, s82                                   // 000000005F38: D2850006 0000A505
	v_readlane_b32 s82, v3, 29                                 // 000000005F40: D2890052 00013B03
	s_lshr_b32 s61, s82, 24                                    // 000000005F48: 8F3D9852
	s_and_b32 s82, s82, 0xffffff                               // 000000005F4C: 8652FF52 00FFFFFF
	s_mul_i32 s82, s82, s71                                    // 000000005F54: 92524752
	s_mul_i32 s61, s60, s61                                    // 000000005F58: 923D3D3C
	s_add_u32 s82, s82, s61                                    // 000000005F5C: 80523D52
	v_mul_lo_u32 v7, v4, s82                                   // 000000005F60: D2850007 0000A504
	v_add_u32_e32 v74, v6, v7                                  // 000000005F68: 68940F06
	v_readlane_b32 s82, v3, 30                                 // 000000005F6C: D2890052 00013D03
	s_lshr_b32 s61, s82, 24                                    // 000000005F74: 8F3D9852
	s_and_b32 s82, s82, 0xffffff                               // 000000005F78: 8652FF52 00FFFFFF
	s_mul_i32 s82, s82, s71                                    // 000000005F80: 92524752
	s_mul_i32 s61, s60, s61                                    // 000000005F84: 923D3D3C
	s_add_u32 s82, s82, s61                                    // 000000005F88: 80523D52
	v_mul_lo_u32 v6, v5, s82                                   // 000000005F8C: D2850006 0000A505
	v_readlane_b32 s82, v3, 31                                 // 000000005F94: D2890052 00013F03
	s_lshr_b32 s61, s82, 24                                    // 000000005F9C: 8F3D9852
	s_and_b32 s82, s82, 0xffffff                               // 000000005FA0: 8652FF52 00FFFFFF
	s_mul_i32 s82, s82, s71                                    // 000000005FA8: 92524752
	s_mul_i32 s61, s60, s61                                    // 000000005FAC: 923D3D3C
	s_add_u32 s82, s82, s61                                    // 000000005FB0: 80523D52
	v_mul_lo_u32 v7, v4, s82                                   // 000000005FB4: D2850007 0000A504
	v_add_u32_e32 v75, v6, v7                                  // 000000005FBC: 68960F06
	v_and_b32_e32 v4, 31, v0                                   // 000000005FC0: 2608009F
	v_lshrrev_b32_e32 v4, 1, v4                                // 000000005FC4: 20080881
	s_cmp_eq_u32 s88, 0                                        // 000000005FC8: BF068058
	s_cselect_b32 s61, 2, 4                                    // 000000005FCC: 853D8482
	v_mul_lo_u32 v4, v4, s61                                   // 000000005FD0: D2850004 00007B04
	v_and_b32_e64 v5, v0, 1                                    // 000000005FD8: D1130005 00010300
	v_add_u32_e32 v4, v4, v5                                   // 000000005FE0: 68080B04
	v_lshlrev_b32_e32 v4, 2, v4                                // 000000005FE4: 24080882
	v_add_u32_e32 v60, v60, v4                                 // 000000005FE8: 6878093C
	v_add_u32_e32 v61, v61, v4                                 // 000000005FEC: 687A093D
	v_add_u32_e32 v62, v62, v4                                 // 000000005FF0: 687C093E
	v_add_u32_e32 v63, v63, v4                                 // 000000005FF4: 687E093F
	v_add_u32_e32 v64, v64, v4                                 // 000000005FF8: 68800940
	v_add_u32_e32 v65, v65, v4                                 // 000000005FFC: 68820941
	v_add_u32_e32 v66, v66, v4                                 // 000000006000: 68840942
	v_add_u32_e32 v67, v67, v4                                 // 000000006004: 68860943
	;; [unrolled: 1-line block ×3, first 2 shown]
	v_add_u32_e32 v69, v69, v4                                 // 00000000600C: 688A0945
	v_add_u32_e32 v70, v70, v4                                 // 000000006010: 688C0946
	v_add_u32_e32 v71, v71, v4                                 // 000000006014: 688E0947
	v_add_u32_e32 v72, v72, v4                                 // 000000006018: 68900948
	v_add_u32_e32 v73, v73, v4                                 // 00000000601C: 68920949
	v_add_u32_e32 v74, v74, v4                                 // 000000006020: 6894094A
	v_add_u32_e32 v75, v75, v4                                 // 000000006024: 6896094B
	s_waitcnt lgkmcnt(0)                                       // 000000006028: BF8CC07F
	s_barrier                                                  // 00000000602C: BF8A0000
	ds_read_b32 v80, v21                                       // 000000006030: D86C0000 50000015
	ds_read_b32 v81, v21 offset:64                             // 000000006038: D86C0040 51000015
	ds_read_b32 v84, v21 offset:2176                           // 000000006040: D86C0880 54000015
	ds_read_b32 v85, v21 offset:2240                           // 000000006048: D86C08C0 55000015
	ds_read_b32 v88, v21 offset:4352                           // 000000006050: D86C1100 58000015
	ds_read_b32 v89, v21 offset:4416                           // 000000006058: D86C1140 59000015
	ds_read_b32 v92, v21 offset:6528                           // 000000006060: D86C1980 5C000015
	ds_read_b32 v93, v21 offset:6592                           // 000000006068: D86C19C0 5D000015
	ds_read_b32 v96, v21 offset:8704                           // 000000006070: D86C2200 60000015
	ds_read_b32 v97, v21 offset:8768                           // 000000006078: D86C2240 61000015
	ds_read_b32 v100, v21 offset:10880                         // 000000006080: D86C2A80 64000015
	ds_read_b32 v101, v21 offset:10944                         // 000000006088: D86C2AC0 65000015
	ds_read_b32 v104, v21 offset:13056                         // 000000006090: D86C3300 68000015
	ds_read_b32 v105, v21 offset:13120                         // 000000006098: D86C3340 69000015
	ds_read_b32 v108, v21 offset:15232                         // 0000000060A0: D86C3B80 6C000015
	ds_read_b32 v109, v21 offset:15296                         // 0000000060A8: D86C3BC0 6D000015
	s_waitcnt lgkmcnt(0)                                       // 0000000060B0: BF8CC07F
	s_mov_b32 s36, -1                                          // 0000000060B4: BEA400C1
	s_mov_b32 s37, -1                                          // 0000000060B8: BEA500C1
	v_mov_b32_e32 v7, 0                                        // 0000000060BC: 7E0E0280
	s_mov_b64 exec, s[36:37]                                   // 0000000060C0: BEFE0124
	v_mov_b32_e32 v6, v60                                      // 0000000060C4: 7E0C033C
	s_mov_b64 s[60:61], 0                                      // 0000000060C8: BEBC0180
	v_readlane_b32 s82, v3, 0                                  // 0000000060CC: D2890052 00010103
	s_and_b32 s82, s82, 0xffffff                               // 0000000060D4: 8652FF52 00FFFFFF
	s_cmp_lt_u32 s82, s66                                      // 0000000060DC: BF0A4252
	s_cselect_b32 s20, s36, s60                                // 0000000060E0: 85143C24
	v_readlane_b32 s82, v3, 1                                  // 0000000060E4: D2890052 00010303
	s_and_b32 s82, s82, 0xffffff                               // 0000000060EC: 8652FF52 00FFFFFF
	s_cmp_lt_u32 s82, s66                                      // 0000000060F4: BF0A4252
	s_cselect_b32 s21, s36, s60                                // 0000000060F8: 85153C24
	s_mov_b64 exec, s[20:21]                                   // 0000000060FC: BEFE0114
	global_atomic_add_f32 v6, v80, s[8:9]                      // 000000006100: DD348000 00085006
	s_mov_b64 exec, s[36:37]                                   // 000000006108: BEFE0124
	v_mov_b32_e32 v6, v61                                      // 00000000610C: 7E0C033D
	s_mov_b64 s[60:61], 0                                      // 000000006110: BEBC0180
	v_readlane_b32 s82, v3, 2                                  // 000000006114: D2890052 00010503
	s_and_b32 s82, s82, 0xffffff                               // 00000000611C: 8652FF52 00FFFFFF
	s_cmp_lt_u32 s82, s66                                      // 000000006124: BF0A4252
	s_cselect_b32 s20, s36, s60                                // 000000006128: 85143C24
	v_readlane_b32 s82, v3, 3                                  // 00000000612C: D2890052 00010703
	s_and_b32 s82, s82, 0xffffff                               // 000000006134: 8652FF52 00FFFFFF
	s_cmp_lt_u32 s82, s66                                      // 00000000613C: BF0A4252
	s_cselect_b32 s21, s36, s60                                // 000000006140: 85153C24
	s_mov_b64 exec, s[20:21]                                   // 000000006144: BEFE0114
	global_atomic_add_f32 v6, v81, s[8:9]                      // 000000006148: DD348000 00085106
	s_mov_b64 exec, s[36:37]                                   // 000000006150: BEFE0124
	v_mov_b32_e32 v6, v62                                      // 000000006154: 7E0C033E
	s_mov_b64 s[60:61], 0                                      // 000000006158: BEBC0180
	v_readlane_b32 s82, v3, 4                                  // 00000000615C: D2890052 00010903
	s_and_b32 s82, s82, 0xffffff                               // 000000006164: 8652FF52 00FFFFFF
	s_cmp_lt_u32 s82, s66                                      // 00000000616C: BF0A4252
	s_cselect_b32 s20, s36, s60                                // 000000006170: 85143C24
	v_readlane_b32 s82, v3, 5                                  // 000000006174: D2890052 00010B03
	s_and_b32 s82, s82, 0xffffff                               // 00000000617C: 8652FF52 00FFFFFF
	s_cmp_lt_u32 s82, s66                                      // 000000006184: BF0A4252
	s_cselect_b32 s21, s36, s60                                // 000000006188: 85153C24
	s_mov_b64 exec, s[20:21]                                   // 00000000618C: BEFE0114
	global_atomic_add_f32 v6, v84, s[8:9]                      // 000000006190: DD348000 00085406
	s_mov_b64 exec, s[36:37]                                   // 000000006198: BEFE0124
	v_mov_b32_e32 v6, v63                                      // 00000000619C: 7E0C033F
	s_mov_b64 s[60:61], 0                                      // 0000000061A0: BEBC0180
	v_readlane_b32 s82, v3, 6                                  // 0000000061A4: D2890052 00010D03
	s_and_b32 s82, s82, 0xffffff                               // 0000000061AC: 8652FF52 00FFFFFF
	s_cmp_lt_u32 s82, s66                                      // 0000000061B4: BF0A4252
	s_cselect_b32 s20, s36, s60                                // 0000000061B8: 85143C24
	v_readlane_b32 s82, v3, 7                                  // 0000000061BC: D2890052 00010F03
	s_and_b32 s82, s82, 0xffffff                               // 0000000061C4: 8652FF52 00FFFFFF
	s_cmp_lt_u32 s82, s66                                      // 0000000061CC: BF0A4252
	s_cselect_b32 s21, s36, s60                                // 0000000061D0: 85153C24
	s_mov_b64 exec, s[20:21]                                   // 0000000061D4: BEFE0114
	global_atomic_add_f32 v6, v85, s[8:9]                      // 0000000061D8: DD348000 00085506
	s_mov_b64 exec, s[36:37]                                   // 0000000061E0: BEFE0124
	v_mov_b32_e32 v6, v64                                      // 0000000061E4: 7E0C0340
	s_mov_b64 s[60:61], 0                                      // 0000000061E8: BEBC0180
	v_readlane_b32 s82, v3, 8                                  // 0000000061EC: D2890052 00011103
	s_and_b32 s82, s82, 0xffffff                               // 0000000061F4: 8652FF52 00FFFFFF
	s_cmp_lt_u32 s82, s66                                      // 0000000061FC: BF0A4252
	s_cselect_b32 s20, s36, s60                                // 000000006200: 85143C24
	v_readlane_b32 s82, v3, 9                                  // 000000006204: D2890052 00011303
	s_and_b32 s82, s82, 0xffffff                               // 00000000620C: 8652FF52 00FFFFFF
	s_cmp_lt_u32 s82, s66                                      // 000000006214: BF0A4252
	s_cselect_b32 s21, s36, s60                                // 000000006218: 85153C24
	s_mov_b64 exec, s[20:21]                                   // 00000000621C: BEFE0114
	global_atomic_add_f32 v6, v88, s[8:9]                      // 000000006220: DD348000 00085806
	s_mov_b64 exec, s[36:37]                                   // 000000006228: BEFE0124
	v_mov_b32_e32 v6, v65                                      // 00000000622C: 7E0C0341
	s_mov_b64 s[60:61], 0                                      // 000000006230: BEBC0180
	v_readlane_b32 s82, v3, 10                                 // 000000006234: D2890052 00011503
	s_and_b32 s82, s82, 0xffffff                               // 00000000623C: 8652FF52 00FFFFFF
	s_cmp_lt_u32 s82, s66                                      // 000000006244: BF0A4252
	s_cselect_b32 s20, s36, s60                                // 000000006248: 85143C24
	v_readlane_b32 s82, v3, 11                                 // 00000000624C: D2890052 00011703
	s_and_b32 s82, s82, 0xffffff                               // 000000006254: 8652FF52 00FFFFFF
	s_cmp_lt_u32 s82, s66                                      // 00000000625C: BF0A4252
	s_cselect_b32 s21, s36, s60                                // 000000006260: 85153C24
	s_mov_b64 exec, s[20:21]                                   // 000000006264: BEFE0114
	global_atomic_add_f32 v6, v89, s[8:9]                      // 000000006268: DD348000 00085906
	s_mov_b64 exec, s[36:37]                                   // 000000006270: BEFE0124
	v_mov_b32_e32 v6, v66                                      // 000000006274: 7E0C0342
	s_mov_b64 s[60:61], 0                                      // 000000006278: BEBC0180
	v_readlane_b32 s82, v3, 12                                 // 00000000627C: D2890052 00011903
	s_and_b32 s82, s82, 0xffffff                               // 000000006284: 8652FF52 00FFFFFF
	s_cmp_lt_u32 s82, s66                                      // 00000000628C: BF0A4252
	s_cselect_b32 s20, s36, s60                                // 000000006290: 85143C24
	v_readlane_b32 s82, v3, 13                                 // 000000006294: D2890052 00011B03
	s_and_b32 s82, s82, 0xffffff                               // 00000000629C: 8652FF52 00FFFFFF
	s_cmp_lt_u32 s82, s66                                      // 0000000062A4: BF0A4252
	s_cselect_b32 s21, s36, s60                                // 0000000062A8: 85153C24
	s_mov_b64 exec, s[20:21]                                   // 0000000062AC: BEFE0114
	global_atomic_add_f32 v6, v92, s[8:9]                      // 0000000062B0: DD348000 00085C06
	s_mov_b64 exec, s[36:37]                                   // 0000000062B8: BEFE0124
	v_mov_b32_e32 v6, v67                                      // 0000000062BC: 7E0C0343
	s_mov_b64 s[60:61], 0                                      // 0000000062C0: BEBC0180
	v_readlane_b32 s82, v3, 14                                 // 0000000062C4: D2890052 00011D03
	s_and_b32 s82, s82, 0xffffff                               // 0000000062CC: 8652FF52 00FFFFFF
	s_cmp_lt_u32 s82, s66                                      // 0000000062D4: BF0A4252
	s_cselect_b32 s20, s36, s60                                // 0000000062D8: 85143C24
	v_readlane_b32 s82, v3, 15                                 // 0000000062DC: D2890052 00011F03
	s_and_b32 s82, s82, 0xffffff                               // 0000000062E4: 8652FF52 00FFFFFF
	s_cmp_lt_u32 s82, s66                                      // 0000000062EC: BF0A4252
	s_cselect_b32 s21, s36, s60                                // 0000000062F0: 85153C24
	s_mov_b64 exec, s[20:21]                                   // 0000000062F4: BEFE0114
	global_atomic_add_f32 v6, v93, s[8:9]                      // 0000000062F8: DD348000 00085D06
	s_mov_b64 exec, s[36:37]                                   // 000000006300: BEFE0124
	v_mov_b32_e32 v6, v68                                      // 000000006304: 7E0C0344
	s_mov_b64 s[60:61], 0                                      // 000000006308: BEBC0180
	v_readlane_b32 s82, v3, 16                                 // 00000000630C: D2890052 00012103
	s_and_b32 s82, s82, 0xffffff                               // 000000006314: 8652FF52 00FFFFFF
	s_cmp_lt_u32 s82, s66                                      // 00000000631C: BF0A4252
	s_cselect_b32 s20, s36, s60                                // 000000006320: 85143C24
	v_readlane_b32 s82, v3, 17                                 // 000000006324: D2890052 00012303
	s_and_b32 s82, s82, 0xffffff                               // 00000000632C: 8652FF52 00FFFFFF
	s_cmp_lt_u32 s82, s66                                      // 000000006334: BF0A4252
	s_cselect_b32 s21, s36, s60                                // 000000006338: 85153C24
	s_mov_b64 exec, s[20:21]                                   // 00000000633C: BEFE0114
	global_atomic_add_f32 v6, v96, s[8:9]                      // 000000006340: DD348000 00086006
	s_mov_b64 exec, s[36:37]                                   // 000000006348: BEFE0124
	v_mov_b32_e32 v6, v69                                      // 00000000634C: 7E0C0345
	s_mov_b64 s[60:61], 0                                      // 000000006350: BEBC0180
	v_readlane_b32 s82, v3, 18                                 // 000000006354: D2890052 00012503
	s_and_b32 s82, s82, 0xffffff                               // 00000000635C: 8652FF52 00FFFFFF
	s_cmp_lt_u32 s82, s66                                      // 000000006364: BF0A4252
	s_cselect_b32 s20, s36, s60                                // 000000006368: 85143C24
	v_readlane_b32 s82, v3, 19                                 // 00000000636C: D2890052 00012703
	s_and_b32 s82, s82, 0xffffff                               // 000000006374: 8652FF52 00FFFFFF
	s_cmp_lt_u32 s82, s66                                      // 00000000637C: BF0A4252
	s_cselect_b32 s21, s36, s60                                // 000000006380: 85153C24
	s_mov_b64 exec, s[20:21]                                   // 000000006384: BEFE0114
	global_atomic_add_f32 v6, v97, s[8:9]                      // 000000006388: DD348000 00086106
	s_mov_b64 exec, s[36:37]                                   // 000000006390: BEFE0124
	v_mov_b32_e32 v6, v70                                      // 000000006394: 7E0C0346
	s_mov_b64 s[60:61], 0                                      // 000000006398: BEBC0180
	v_readlane_b32 s82, v3, 20                                 // 00000000639C: D2890052 00012903
	s_and_b32 s82, s82, 0xffffff                               // 0000000063A4: 8652FF52 00FFFFFF
	s_cmp_lt_u32 s82, s66                                      // 0000000063AC: BF0A4252
	s_cselect_b32 s20, s36, s60                                // 0000000063B0: 85143C24
	v_readlane_b32 s82, v3, 21                                 // 0000000063B4: D2890052 00012B03
	s_and_b32 s82, s82, 0xffffff                               // 0000000063BC: 8652FF52 00FFFFFF
	s_cmp_lt_u32 s82, s66                                      // 0000000063C4: BF0A4252
	s_cselect_b32 s21, s36, s60                                // 0000000063C8: 85153C24
	s_mov_b64 exec, s[20:21]                                   // 0000000063CC: BEFE0114
	global_atomic_add_f32 v6, v100, s[8:9]                     // 0000000063D0: DD348000 00086406
	s_mov_b64 exec, s[36:37]                                   // 0000000063D8: BEFE0124
	v_mov_b32_e32 v6, v71                                      // 0000000063DC: 7E0C0347
	s_mov_b64 s[60:61], 0                                      // 0000000063E0: BEBC0180
	v_readlane_b32 s82, v3, 22                                 // 0000000063E4: D2890052 00012D03
	s_and_b32 s82, s82, 0xffffff                               // 0000000063EC: 8652FF52 00FFFFFF
	s_cmp_lt_u32 s82, s66                                      // 0000000063F4: BF0A4252
	s_cselect_b32 s20, s36, s60                                // 0000000063F8: 85143C24
	v_readlane_b32 s82, v3, 23                                 // 0000000063FC: D2890052 00012F03
	s_and_b32 s82, s82, 0xffffff                               // 000000006404: 8652FF52 00FFFFFF
	s_cmp_lt_u32 s82, s66                                      // 00000000640C: BF0A4252
	s_cselect_b32 s21, s36, s60                                // 000000006410: 85153C24
	s_mov_b64 exec, s[20:21]                                   // 000000006414: BEFE0114
	global_atomic_add_f32 v6, v101, s[8:9]                     // 000000006418: DD348000 00086506
	s_mov_b64 exec, s[36:37]                                   // 000000006420: BEFE0124
	v_mov_b32_e32 v6, v72                                      // 000000006424: 7E0C0348
	s_mov_b64 s[60:61], 0                                      // 000000006428: BEBC0180
	v_readlane_b32 s82, v3, 24                                 // 00000000642C: D2890052 00013103
	s_and_b32 s82, s82, 0xffffff                               // 000000006434: 8652FF52 00FFFFFF
	s_cmp_lt_u32 s82, s66                                      // 00000000643C: BF0A4252
	s_cselect_b32 s20, s36, s60                                // 000000006440: 85143C24
	v_readlane_b32 s82, v3, 25                                 // 000000006444: D2890052 00013303
	s_and_b32 s82, s82, 0xffffff                               // 00000000644C: 8652FF52 00FFFFFF
	s_cmp_lt_u32 s82, s66                                      // 000000006454: BF0A4252
	s_cselect_b32 s21, s36, s60                                // 000000006458: 85153C24
	s_mov_b64 exec, s[20:21]                                   // 00000000645C: BEFE0114
	global_atomic_add_f32 v6, v104, s[8:9]                     // 000000006460: DD348000 00086806
	s_mov_b64 exec, s[36:37]                                   // 000000006468: BEFE0124
	v_mov_b32_e32 v6, v73                                      // 00000000646C: 7E0C0349
	s_mov_b64 s[60:61], 0                                      // 000000006470: BEBC0180
	v_readlane_b32 s82, v3, 26                                 // 000000006474: D2890052 00013503
	s_and_b32 s82, s82, 0xffffff                               // 00000000647C: 8652FF52 00FFFFFF
	s_cmp_lt_u32 s82, s66                                      // 000000006484: BF0A4252
	s_cselect_b32 s20, s36, s60                                // 000000006488: 85143C24
	v_readlane_b32 s82, v3, 27                                 // 00000000648C: D2890052 00013703
	s_and_b32 s82, s82, 0xffffff                               // 000000006494: 8652FF52 00FFFFFF
	s_cmp_lt_u32 s82, s66                                      // 00000000649C: BF0A4252
	s_cselect_b32 s21, s36, s60                                // 0000000064A0: 85153C24
	s_mov_b64 exec, s[20:21]                                   // 0000000064A4: BEFE0114
	global_atomic_add_f32 v6, v105, s[8:9]                     // 0000000064A8: DD348000 00086906
	s_mov_b64 exec, s[36:37]                                   // 0000000064B0: BEFE0124
	v_mov_b32_e32 v6, v74                                      // 0000000064B4: 7E0C034A
	s_mov_b64 s[60:61], 0                                      // 0000000064B8: BEBC0180
	v_readlane_b32 s82, v3, 28                                 // 0000000064BC: D2890052 00013903
	s_and_b32 s82, s82, 0xffffff                               // 0000000064C4: 8652FF52 00FFFFFF
	s_cmp_lt_u32 s82, s66                                      // 0000000064CC: BF0A4252
	s_cselect_b32 s20, s36, s60                                // 0000000064D0: 85143C24
	v_readlane_b32 s82, v3, 29                                 // 0000000064D4: D2890052 00013B03
	s_and_b32 s82, s82, 0xffffff                               // 0000000064DC: 8652FF52 00FFFFFF
	s_cmp_lt_u32 s82, s66                                      // 0000000064E4: BF0A4252
	s_cselect_b32 s21, s36, s60                                // 0000000064E8: 85153C24
	s_mov_b64 exec, s[20:21]                                   // 0000000064EC: BEFE0114
	global_atomic_add_f32 v6, v108, s[8:9]                     // 0000000064F0: DD348000 00086C06
	s_mov_b64 exec, s[36:37]                                   // 0000000064F8: BEFE0124
	v_mov_b32_e32 v6, v75                                      // 0000000064FC: 7E0C034B
	s_mov_b64 s[60:61], 0                                      // 000000006500: BEBC0180
	v_readlane_b32 s82, v3, 30                                 // 000000006504: D2890052 00013D03
	s_and_b32 s82, s82, 0xffffff                               // 00000000650C: 8652FF52 00FFFFFF
	s_cmp_lt_u32 s82, s66                                      // 000000006514: BF0A4252
	s_cselect_b32 s20, s36, s60                                // 000000006518: 85143C24
	v_readlane_b32 s82, v3, 31                                 // 00000000651C: D2890052 00013F03
	s_and_b32 s82, s82, 0xffffff                               // 000000006524: 8652FF52 00FFFFFF
	s_cmp_lt_u32 s82, s66                                      // 00000000652C: BF0A4252
	s_cselect_b32 s21, s36, s60                                // 000000006530: 85153C24
	s_mov_b64 exec, s[20:21]                                   // 000000006534: BEFE0114
	global_atomic_add_f32 v6, v109, s[8:9]                     // 000000006538: DD348000 00086D06
	s_mov_b64 exec, s[36:37]                                   // 000000006540: BEFE0124
	ds_write_b64 v20, v[82:83]                                 // 000000006544: D89A0000 00005214
	ds_write_b64 v20, v[86:87] offset:2176                     // 00000000654C: D89A0880 00005614
	ds_write_b64 v20, v[90:91] offset:4352                     // 000000006554: D89A1100 00005A14
	ds_write_b64 v20, v[94:95] offset:6528                     // 00000000655C: D89A1980 00005E14
	ds_write_b64 v20, v[98:99] offset:8704                     // 000000006564: D89A2200 00006214
	ds_write_b64 v20, v[102:103] offset:10880                  // 00000000656C: D89A2A80 00006614
	ds_write_b64 v20, v[106:107] offset:13056                  // 000000006574: D89A3300 00006A14
	ds_write_b64 v20, v[110:111] offset:15232                  // 00000000657C: D89A3B80 00006E14
	s_waitcnt lgkmcnt(0)                                       // 000000006584: BF8CC07F
	s_barrier                                                  // 000000006588: BF8A0000
	ds_read_b32 v82, v21                                       // 00000000658C: D86C0000 52000015
	ds_read_b32 v83, v21 offset:64                             // 000000006594: D86C0040 53000015
	ds_read_b32 v86, v21 offset:2176                           // 00000000659C: D86C0880 56000015
	ds_read_b32 v87, v21 offset:2240                           // 0000000065A4: D86C08C0 57000015
	ds_read_b32 v90, v21 offset:4352                           // 0000000065AC: D86C1100 5A000015
	ds_read_b32 v91, v21 offset:4416                           // 0000000065B4: D86C1140 5B000015
	ds_read_b32 v94, v21 offset:6528                           // 0000000065BC: D86C1980 5E000015
	ds_read_b32 v95, v21 offset:6592                           // 0000000065C4: D86C19C0 5F000015
	ds_read_b32 v98, v21 offset:8704                           // 0000000065CC: D86C2200 62000015
	ds_read_b32 v99, v21 offset:8768                           // 0000000065D4: D86C2240 63000015
	ds_read_b32 v102, v21 offset:10880                         // 0000000065DC: D86C2A80 66000015
	ds_read_b32 v103, v21 offset:10944                         // 0000000065E4: D86C2AC0 67000015
	ds_read_b32 v106, v21 offset:13056                         // 0000000065EC: D86C3300 6A000015
	ds_read_b32 v107, v21 offset:13120                         // 0000000065F4: D86C3340 6B000015
	ds_read_b32 v110, v21 offset:15232                         // 0000000065FC: D86C3B80 6E000015
	ds_read_b32 v111, v21 offset:15296                         // 000000006604: D86C3BC0 6F000015
	s_waitcnt lgkmcnt(0)                                       // 00000000660C: BF8CC07F
	v_mov_b32_e32 v7, 0                                        // 000000006610: 7E0E0280
	s_mov_b64 exec, s[36:37]                                   // 000000006614: BEFE0124
	v_mov_b32_e32 v6, v60                                      // 000000006618: 7E0C033C
	s_mov_b64 s[60:61], 0                                      // 00000000661C: BEBC0180
	v_readlane_b32 s82, v3, 0                                  // 000000006620: D2890052 00010103
	s_and_b32 s82, s82, 0xffffff                               // 000000006628: 8652FF52 00FFFFFF
	s_cmp_lt_u32 s82, s66                                      // 000000006630: BF0A4252
	s_cselect_b32 s20, s36, s60                                // 000000006634: 85143C24
	v_readlane_b32 s82, v3, 1                                  // 000000006638: D2890052 00010303
	s_and_b32 s82, s82, 0xffffff                               // 000000006640: 8652FF52 00FFFFFF
	s_cmp_lt_u32 s82, s66                                      // 000000006648: BF0A4252
	s_cselect_b32 s21, s36, s60                                // 00000000664C: 85153C24
	s_mov_b64 exec, s[20:21]                                   // 000000006650: BEFE0114
	global_atomic_add_f32 v6, v82, s[8:9] offset:8             // 000000006654: DD348008 00085206
	s_mov_b64 exec, s[36:37]                                   // 00000000665C: BEFE0124
	v_mov_b32_e32 v6, v61                                      // 000000006660: 7E0C033D
	s_mov_b64 s[60:61], 0                                      // 000000006664: BEBC0180
	v_readlane_b32 s82, v3, 2                                  // 000000006668: D2890052 00010503
	s_and_b32 s82, s82, 0xffffff                               // 000000006670: 8652FF52 00FFFFFF
	s_cmp_lt_u32 s82, s66                                      // 000000006678: BF0A4252
	s_cselect_b32 s20, s36, s60                                // 00000000667C: 85143C24
	v_readlane_b32 s82, v3, 3                                  // 000000006680: D2890052 00010703
	s_and_b32 s82, s82, 0xffffff                               // 000000006688: 8652FF52 00FFFFFF
	s_cmp_lt_u32 s82, s66                                      // 000000006690: BF0A4252
	s_cselect_b32 s21, s36, s60                                // 000000006694: 85153C24
	s_mov_b64 exec, s[20:21]                                   // 000000006698: BEFE0114
	global_atomic_add_f32 v6, v83, s[8:9] offset:8             // 00000000669C: DD348008 00085306
	s_mov_b64 exec, s[36:37]                                   // 0000000066A4: BEFE0124
	v_mov_b32_e32 v6, v62                                      // 0000000066A8: 7E0C033E
	s_mov_b64 s[60:61], 0                                      // 0000000066AC: BEBC0180
	v_readlane_b32 s82, v3, 4                                  // 0000000066B0: D2890052 00010903
	s_and_b32 s82, s82, 0xffffff                               // 0000000066B8: 8652FF52 00FFFFFF
	s_cmp_lt_u32 s82, s66                                      // 0000000066C0: BF0A4252
	s_cselect_b32 s20, s36, s60                                // 0000000066C4: 85143C24
	v_readlane_b32 s82, v3, 5                                  // 0000000066C8: D2890052 00010B03
	s_and_b32 s82, s82, 0xffffff                               // 0000000066D0: 8652FF52 00FFFFFF
	s_cmp_lt_u32 s82, s66                                      // 0000000066D8: BF0A4252
	s_cselect_b32 s21, s36, s60                                // 0000000066DC: 85153C24
	s_mov_b64 exec, s[20:21]                                   // 0000000066E0: BEFE0114
	global_atomic_add_f32 v6, v86, s[8:9] offset:8             // 0000000066E4: DD348008 00085606
	s_mov_b64 exec, s[36:37]                                   // 0000000066EC: BEFE0124
	v_mov_b32_e32 v6, v63                                      // 0000000066F0: 7E0C033F
	s_mov_b64 s[60:61], 0                                      // 0000000066F4: BEBC0180
	v_readlane_b32 s82, v3, 6                                  // 0000000066F8: D2890052 00010D03
	s_and_b32 s82, s82, 0xffffff                               // 000000006700: 8652FF52 00FFFFFF
	s_cmp_lt_u32 s82, s66                                      // 000000006708: BF0A4252
	s_cselect_b32 s20, s36, s60                                // 00000000670C: 85143C24
	v_readlane_b32 s82, v3, 7                                  // 000000006710: D2890052 00010F03
	s_and_b32 s82, s82, 0xffffff                               // 000000006718: 8652FF52 00FFFFFF
	s_cmp_lt_u32 s82, s66                                      // 000000006720: BF0A4252
	s_cselect_b32 s21, s36, s60                                // 000000006724: 85153C24
	s_mov_b64 exec, s[20:21]                                   // 000000006728: BEFE0114
	global_atomic_add_f32 v6, v87, s[8:9] offset:8             // 00000000672C: DD348008 00085706
	s_mov_b64 exec, s[36:37]                                   // 000000006734: BEFE0124
	v_mov_b32_e32 v6, v64                                      // 000000006738: 7E0C0340
	s_mov_b64 s[60:61], 0                                      // 00000000673C: BEBC0180
	v_readlane_b32 s82, v3, 8                                  // 000000006740: D2890052 00011103
	s_and_b32 s82, s82, 0xffffff                               // 000000006748: 8652FF52 00FFFFFF
	s_cmp_lt_u32 s82, s66                                      // 000000006750: BF0A4252
	s_cselect_b32 s20, s36, s60                                // 000000006754: 85143C24
	v_readlane_b32 s82, v3, 9                                  // 000000006758: D2890052 00011303
	s_and_b32 s82, s82, 0xffffff                               // 000000006760: 8652FF52 00FFFFFF
	s_cmp_lt_u32 s82, s66                                      // 000000006768: BF0A4252
	s_cselect_b32 s21, s36, s60                                // 00000000676C: 85153C24
	s_mov_b64 exec, s[20:21]                                   // 000000006770: BEFE0114
	global_atomic_add_f32 v6, v90, s[8:9] offset:8             // 000000006774: DD348008 00085A06
	s_mov_b64 exec, s[36:37]                                   // 00000000677C: BEFE0124
	v_mov_b32_e32 v6, v65                                      // 000000006780: 7E0C0341
	s_mov_b64 s[60:61], 0                                      // 000000006784: BEBC0180
	v_readlane_b32 s82, v3, 10                                 // 000000006788: D2890052 00011503
	s_and_b32 s82, s82, 0xffffff                               // 000000006790: 8652FF52 00FFFFFF
	s_cmp_lt_u32 s82, s66                                      // 000000006798: BF0A4252
	s_cselect_b32 s20, s36, s60                                // 00000000679C: 85143C24
	v_readlane_b32 s82, v3, 11                                 // 0000000067A0: D2890052 00011703
	s_and_b32 s82, s82, 0xffffff                               // 0000000067A8: 8652FF52 00FFFFFF
	s_cmp_lt_u32 s82, s66                                      // 0000000067B0: BF0A4252
	s_cselect_b32 s21, s36, s60                                // 0000000067B4: 85153C24
	s_mov_b64 exec, s[20:21]                                   // 0000000067B8: BEFE0114
	global_atomic_add_f32 v6, v91, s[8:9] offset:8             // 0000000067BC: DD348008 00085B06
	s_mov_b64 exec, s[36:37]                                   // 0000000067C4: BEFE0124
	v_mov_b32_e32 v6, v66                                      // 0000000067C8: 7E0C0342
	s_mov_b64 s[60:61], 0                                      // 0000000067CC: BEBC0180
	v_readlane_b32 s82, v3, 12                                 // 0000000067D0: D2890052 00011903
	s_and_b32 s82, s82, 0xffffff                               // 0000000067D8: 8652FF52 00FFFFFF
	s_cmp_lt_u32 s82, s66                                      // 0000000067E0: BF0A4252
	s_cselect_b32 s20, s36, s60                                // 0000000067E4: 85143C24
	v_readlane_b32 s82, v3, 13                                 // 0000000067E8: D2890052 00011B03
	s_and_b32 s82, s82, 0xffffff                               // 0000000067F0: 8652FF52 00FFFFFF
	s_cmp_lt_u32 s82, s66                                      // 0000000067F8: BF0A4252
	s_cselect_b32 s21, s36, s60                                // 0000000067FC: 85153C24
	s_mov_b64 exec, s[20:21]                                   // 000000006800: BEFE0114
	global_atomic_add_f32 v6, v94, s[8:9] offset:8             // 000000006804: DD348008 00085E06
	s_mov_b64 exec, s[36:37]                                   // 00000000680C: BEFE0124
	v_mov_b32_e32 v6, v67                                      // 000000006810: 7E0C0343
	s_mov_b64 s[60:61], 0                                      // 000000006814: BEBC0180
	v_readlane_b32 s82, v3, 14                                 // 000000006818: D2890052 00011D03
	s_and_b32 s82, s82, 0xffffff                               // 000000006820: 8652FF52 00FFFFFF
	s_cmp_lt_u32 s82, s66                                      // 000000006828: BF0A4252
	s_cselect_b32 s20, s36, s60                                // 00000000682C: 85143C24
	v_readlane_b32 s82, v3, 15                                 // 000000006830: D2890052 00011F03
	s_and_b32 s82, s82, 0xffffff                               // 000000006838: 8652FF52 00FFFFFF
	s_cmp_lt_u32 s82, s66                                      // 000000006840: BF0A4252
	s_cselect_b32 s21, s36, s60                                // 000000006844: 85153C24
	s_mov_b64 exec, s[20:21]                                   // 000000006848: BEFE0114
	global_atomic_add_f32 v6, v95, s[8:9] offset:8             // 00000000684C: DD348008 00085F06
	s_mov_b64 exec, s[36:37]                                   // 000000006854: BEFE0124
	v_mov_b32_e32 v6, v68                                      // 000000006858: 7E0C0344
	s_mov_b64 s[60:61], 0                                      // 00000000685C: BEBC0180
	v_readlane_b32 s82, v3, 16                                 // 000000006860: D2890052 00012103
	s_and_b32 s82, s82, 0xffffff                               // 000000006868: 8652FF52 00FFFFFF
	s_cmp_lt_u32 s82, s66                                      // 000000006870: BF0A4252
	s_cselect_b32 s20, s36, s60                                // 000000006874: 85143C24
	v_readlane_b32 s82, v3, 17                                 // 000000006878: D2890052 00012303
	s_and_b32 s82, s82, 0xffffff                               // 000000006880: 8652FF52 00FFFFFF
	s_cmp_lt_u32 s82, s66                                      // 000000006888: BF0A4252
	s_cselect_b32 s21, s36, s60                                // 00000000688C: 85153C24
	s_mov_b64 exec, s[20:21]                                   // 000000006890: BEFE0114
	global_atomic_add_f32 v6, v98, s[8:9] offset:8             // 000000006894: DD348008 00086206
	s_mov_b64 exec, s[36:37]                                   // 00000000689C: BEFE0124
	v_mov_b32_e32 v6, v69                                      // 0000000068A0: 7E0C0345
	s_mov_b64 s[60:61], 0                                      // 0000000068A4: BEBC0180
	v_readlane_b32 s82, v3, 18                                 // 0000000068A8: D2890052 00012503
	s_and_b32 s82, s82, 0xffffff                               // 0000000068B0: 8652FF52 00FFFFFF
	s_cmp_lt_u32 s82, s66                                      // 0000000068B8: BF0A4252
	s_cselect_b32 s20, s36, s60                                // 0000000068BC: 85143C24
	v_readlane_b32 s82, v3, 19                                 // 0000000068C0: D2890052 00012703
	s_and_b32 s82, s82, 0xffffff                               // 0000000068C8: 8652FF52 00FFFFFF
	s_cmp_lt_u32 s82, s66                                      // 0000000068D0: BF0A4252
	s_cselect_b32 s21, s36, s60                                // 0000000068D4: 85153C24
	s_mov_b64 exec, s[20:21]                                   // 0000000068D8: BEFE0114
	global_atomic_add_f32 v6, v99, s[8:9] offset:8             // 0000000068DC: DD348008 00086306
	s_mov_b64 exec, s[36:37]                                   // 0000000068E4: BEFE0124
	v_mov_b32_e32 v6, v70                                      // 0000000068E8: 7E0C0346
	s_mov_b64 s[60:61], 0                                      // 0000000068EC: BEBC0180
	v_readlane_b32 s82, v3, 20                                 // 0000000068F0: D2890052 00012903
	s_and_b32 s82, s82, 0xffffff                               // 0000000068F8: 8652FF52 00FFFFFF
	s_cmp_lt_u32 s82, s66                                      // 000000006900: BF0A4252
	s_cselect_b32 s20, s36, s60                                // 000000006904: 85143C24
	v_readlane_b32 s82, v3, 21                                 // 000000006908: D2890052 00012B03
	s_and_b32 s82, s82, 0xffffff                               // 000000006910: 8652FF52 00FFFFFF
	s_cmp_lt_u32 s82, s66                                      // 000000006918: BF0A4252
	s_cselect_b32 s21, s36, s60                                // 00000000691C: 85153C24
	s_mov_b64 exec, s[20:21]                                   // 000000006920: BEFE0114
	global_atomic_add_f32 v6, v102, s[8:9] offset:8            // 000000006924: DD348008 00086606
	s_mov_b64 exec, s[36:37]                                   // 00000000692C: BEFE0124
	v_mov_b32_e32 v6, v71                                      // 000000006930: 7E0C0347
	s_mov_b64 s[60:61], 0                                      // 000000006934: BEBC0180
	v_readlane_b32 s82, v3, 22                                 // 000000006938: D2890052 00012D03
	s_and_b32 s82, s82, 0xffffff                               // 000000006940: 8652FF52 00FFFFFF
	s_cmp_lt_u32 s82, s66                                      // 000000006948: BF0A4252
	s_cselect_b32 s20, s36, s60                                // 00000000694C: 85143C24
	v_readlane_b32 s82, v3, 23                                 // 000000006950: D2890052 00012F03
	s_and_b32 s82, s82, 0xffffff                               // 000000006958: 8652FF52 00FFFFFF
	s_cmp_lt_u32 s82, s66                                      // 000000006960: BF0A4252
	s_cselect_b32 s21, s36, s60                                // 000000006964: 85153C24
	s_mov_b64 exec, s[20:21]                                   // 000000006968: BEFE0114
	global_atomic_add_f32 v6, v103, s[8:9] offset:8            // 00000000696C: DD348008 00086706
	s_mov_b64 exec, s[36:37]                                   // 000000006974: BEFE0124
	v_mov_b32_e32 v6, v72                                      // 000000006978: 7E0C0348
	s_mov_b64 s[60:61], 0                                      // 00000000697C: BEBC0180
	v_readlane_b32 s82, v3, 24                                 // 000000006980: D2890052 00013103
	s_and_b32 s82, s82, 0xffffff                               // 000000006988: 8652FF52 00FFFFFF
	s_cmp_lt_u32 s82, s66                                      // 000000006990: BF0A4252
	s_cselect_b32 s20, s36, s60                                // 000000006994: 85143C24
	v_readlane_b32 s82, v3, 25                                 // 000000006998: D2890052 00013303
	s_and_b32 s82, s82, 0xffffff                               // 0000000069A0: 8652FF52 00FFFFFF
	s_cmp_lt_u32 s82, s66                                      // 0000000069A8: BF0A4252
	s_cselect_b32 s21, s36, s60                                // 0000000069AC: 85153C24
	s_mov_b64 exec, s[20:21]                                   // 0000000069B0: BEFE0114
	global_atomic_add_f32 v6, v106, s[8:9] offset:8            // 0000000069B4: DD348008 00086A06
	s_mov_b64 exec, s[36:37]                                   // 0000000069BC: BEFE0124
	v_mov_b32_e32 v6, v73                                      // 0000000069C0: 7E0C0349
	s_mov_b64 s[60:61], 0                                      // 0000000069C4: BEBC0180
	v_readlane_b32 s82, v3, 26                                 // 0000000069C8: D2890052 00013503
	s_and_b32 s82, s82, 0xffffff                               // 0000000069D0: 8652FF52 00FFFFFF
	s_cmp_lt_u32 s82, s66                                      // 0000000069D8: BF0A4252
	s_cselect_b32 s20, s36, s60                                // 0000000069DC: 85143C24
	v_readlane_b32 s82, v3, 27                                 // 0000000069E0: D2890052 00013703
	s_and_b32 s82, s82, 0xffffff                               // 0000000069E8: 8652FF52 00FFFFFF
	s_cmp_lt_u32 s82, s66                                      // 0000000069F0: BF0A4252
	s_cselect_b32 s21, s36, s60                                // 0000000069F4: 85153C24
	s_mov_b64 exec, s[20:21]                                   // 0000000069F8: BEFE0114
	global_atomic_add_f32 v6, v107, s[8:9] offset:8            // 0000000069FC: DD348008 00086B06
	s_mov_b64 exec, s[36:37]                                   // 000000006A04: BEFE0124
	v_mov_b32_e32 v6, v74                                      // 000000006A08: 7E0C034A
	s_mov_b64 s[60:61], 0                                      // 000000006A0C: BEBC0180
	v_readlane_b32 s82, v3, 28                                 // 000000006A10: D2890052 00013903
	s_and_b32 s82, s82, 0xffffff                               // 000000006A18: 8652FF52 00FFFFFF
	s_cmp_lt_u32 s82, s66                                      // 000000006A20: BF0A4252
	s_cselect_b32 s20, s36, s60                                // 000000006A24: 85143C24
	v_readlane_b32 s82, v3, 29                                 // 000000006A28: D2890052 00013B03
	s_and_b32 s82, s82, 0xffffff                               // 000000006A30: 8652FF52 00FFFFFF
	s_cmp_lt_u32 s82, s66                                      // 000000006A38: BF0A4252
	s_cselect_b32 s21, s36, s60                                // 000000006A3C: 85153C24
	s_mov_b64 exec, s[20:21]                                   // 000000006A40: BEFE0114
	global_atomic_add_f32 v6, v110, s[8:9] offset:8            // 000000006A44: DD348008 00086E06
	s_mov_b64 exec, s[36:37]                                   // 000000006A4C: BEFE0124
	v_mov_b32_e32 v6, v75                                      // 000000006A50: 7E0C034B
	s_mov_b64 s[60:61], 0                                      // 000000006A54: BEBC0180
	v_readlane_b32 s82, v3, 30                                 // 000000006A58: D2890052 00013D03
	s_and_b32 s82, s82, 0xffffff                               // 000000006A60: 8652FF52 00FFFFFF
	s_cmp_lt_u32 s82, s66                                      // 000000006A68: BF0A4252
	s_cselect_b32 s20, s36, s60                                // 000000006A6C: 85143C24
	v_readlane_b32 s82, v3, 31                                 // 000000006A70: D2890052 00013F03
	s_and_b32 s82, s82, 0xffffff                               // 000000006A78: 8652FF52 00FFFFFF
	s_cmp_lt_u32 s82, s66                                      // 000000006A80: BF0A4252
	s_cselect_b32 s21, s36, s60                                // 000000006A84: 85153C24
	s_mov_b64 exec, s[20:21]                                   // 000000006A88: BEFE0114
	global_atomic_add_f32 v6, v111, s[8:9] offset:8            // 000000006A8C: DD348008 00086F06
	s_mov_b64 exec, s[36:37]                                   // 000000006A94: BEFE0124
	ds_write_b64 v20, v[112:113]                               // 000000006A98: D89A0000 00007014
	ds_write_b64 v20, v[116:117] offset:2176                   // 000000006AA0: D89A0880 00007414
	ds_write_b64 v20, v[120:121] offset:4352                   // 000000006AA8: D89A1100 00007814
	ds_write_b64 v20, v[124:125] offset:6528                   // 000000006AB0: D89A1980 00007C14
	ds_write_b64 v20, v[128:129] offset:8704                   // 000000006AB8: D89A2200 00008014
	ds_write_b64 v20, v[132:133] offset:10880                  // 000000006AC0: D89A2A80 00008414
	ds_write_b64 v20, v[136:137] offset:13056                  // 000000006AC8: D89A3300 00008814
	ds_write_b64 v20, v[140:141] offset:15232                  // 000000006AD0: D89A3B80 00008C14
	s_waitcnt lgkmcnt(0)                                       // 000000006AD8: BF8CC07F
	s_barrier                                                  // 000000006ADC: BF8A0000
	ds_read_b32 v112, v21                                      // 000000006AE0: D86C0000 70000015
	ds_read_b32 v113, v21 offset:64                            // 000000006AE8: D86C0040 71000015
	ds_read_b32 v116, v21 offset:2176                          // 000000006AF0: D86C0880 74000015
	ds_read_b32 v117, v21 offset:2240                          // 000000006AF8: D86C08C0 75000015
	ds_read_b32 v120, v21 offset:4352                          // 000000006B00: D86C1100 78000015
	ds_read_b32 v121, v21 offset:4416                          // 000000006B08: D86C1140 79000015
	ds_read_b32 v124, v21 offset:6528                          // 000000006B10: D86C1980 7C000015
	ds_read_b32 v125, v21 offset:6592                          // 000000006B18: D86C19C0 7D000015
	ds_read_b32 v128, v21 offset:8704                          // 000000006B20: D86C2200 80000015
	ds_read_b32 v129, v21 offset:8768                          // 000000006B28: D86C2240 81000015
	ds_read_b32 v132, v21 offset:10880                         // 000000006B30: D86C2A80 84000015
	ds_read_b32 v133, v21 offset:10944                         // 000000006B38: D86C2AC0 85000015
	ds_read_b32 v136, v21 offset:13056                         // 000000006B40: D86C3300 88000015
	ds_read_b32 v137, v21 offset:13120                         // 000000006B48: D86C3340 89000015
	ds_read_b32 v140, v21 offset:15232                         // 000000006B50: D86C3B80 8C000015
	ds_read_b32 v141, v21 offset:15296                         // 000000006B58: D86C3BC0 8D000015
	s_mul_i32 s60, s65, 4                                      // 000000006B60: 923C8441
	s_add_u32 s8, s60, s8                                      // 000000006B64: 8008083C
	s_addc_u32 s9, 0, s9                                       // 000000006B68: 82090980
	s_waitcnt lgkmcnt(0)                                       // 000000006B6C: BF8CC07F
	v_mov_b32_e32 v7, 0                                        // 000000006B70: 7E0E0280
	s_mov_b64 exec, s[36:37]                                   // 000000006B74: BEFE0124
	v_mov_b32_e32 v6, v60                                      // 000000006B78: 7E0C033C
	s_mov_b64 s[60:61], 0                                      // 000000006B7C: BEBC0180
	v_readlane_b32 s82, v3, 0                                  // 000000006B80: D2890052 00010103
	s_and_b32 s82, s82, 0xffffff                               // 000000006B88: 8652FF52 00FFFFFF
	s_cmp_lt_u32 s82, s66                                      // 000000006B90: BF0A4252
	s_cselect_b32 s20, s36, s60                                // 000000006B94: 85143C24
	v_readlane_b32 s82, v3, 1                                  // 000000006B98: D2890052 00010303
	s_and_b32 s82, s82, 0xffffff                               // 000000006BA0: 8652FF52 00FFFFFF
	s_cmp_lt_u32 s82, s66                                      // 000000006BA8: BF0A4252
	s_cselect_b32 s21, s36, s60                                // 000000006BAC: 85153C24
	s_mov_b64 exec, s[20:21]                                   // 000000006BB0: BEFE0114
	global_atomic_add_f32 v6, v112, s[8:9]                     // 000000006BB4: DD348000 00087006
	s_mov_b64 exec, s[36:37]                                   // 000000006BBC: BEFE0124
	v_mov_b32_e32 v6, v61                                      // 000000006BC0: 7E0C033D
	s_mov_b64 s[60:61], 0                                      // 000000006BC4: BEBC0180
	v_readlane_b32 s82, v3, 2                                  // 000000006BC8: D2890052 00010503
	s_and_b32 s82, s82, 0xffffff                               // 000000006BD0: 8652FF52 00FFFFFF
	s_cmp_lt_u32 s82, s66                                      // 000000006BD8: BF0A4252
	s_cselect_b32 s20, s36, s60                                // 000000006BDC: 85143C24
	v_readlane_b32 s82, v3, 3                                  // 000000006BE0: D2890052 00010703
	s_and_b32 s82, s82, 0xffffff                               // 000000006BE8: 8652FF52 00FFFFFF
	s_cmp_lt_u32 s82, s66                                      // 000000006BF0: BF0A4252
	s_cselect_b32 s21, s36, s60                                // 000000006BF4: 85153C24
	s_mov_b64 exec, s[20:21]                                   // 000000006BF8: BEFE0114
	global_atomic_add_f32 v6, v113, s[8:9]                     // 000000006BFC: DD348000 00087106
	s_mov_b64 exec, s[36:37]                                   // 000000006C04: BEFE0124
	v_mov_b32_e32 v6, v62                                      // 000000006C08: 7E0C033E
	s_mov_b64 s[60:61], 0                                      // 000000006C0C: BEBC0180
	v_readlane_b32 s82, v3, 4                                  // 000000006C10: D2890052 00010903
	s_and_b32 s82, s82, 0xffffff                               // 000000006C18: 8652FF52 00FFFFFF
	s_cmp_lt_u32 s82, s66                                      // 000000006C20: BF0A4252
	s_cselect_b32 s20, s36, s60                                // 000000006C24: 85143C24
	v_readlane_b32 s82, v3, 5                                  // 000000006C28: D2890052 00010B03
	s_and_b32 s82, s82, 0xffffff                               // 000000006C30: 8652FF52 00FFFFFF
	s_cmp_lt_u32 s82, s66                                      // 000000006C38: BF0A4252
	s_cselect_b32 s21, s36, s60                                // 000000006C3C: 85153C24
	s_mov_b64 exec, s[20:21]                                   // 000000006C40: BEFE0114
	global_atomic_add_f32 v6, v116, s[8:9]                     // 000000006C44: DD348000 00087406
	s_mov_b64 exec, s[36:37]                                   // 000000006C4C: BEFE0124
	v_mov_b32_e32 v6, v63                                      // 000000006C50: 7E0C033F
	s_mov_b64 s[60:61], 0                                      // 000000006C54: BEBC0180
	v_readlane_b32 s82, v3, 6                                  // 000000006C58: D2890052 00010D03
	s_and_b32 s82, s82, 0xffffff                               // 000000006C60: 8652FF52 00FFFFFF
	s_cmp_lt_u32 s82, s66                                      // 000000006C68: BF0A4252
	s_cselect_b32 s20, s36, s60                                // 000000006C6C: 85143C24
	v_readlane_b32 s82, v3, 7                                  // 000000006C70: D2890052 00010F03
	s_and_b32 s82, s82, 0xffffff                               // 000000006C78: 8652FF52 00FFFFFF
	s_cmp_lt_u32 s82, s66                                      // 000000006C80: BF0A4252
	s_cselect_b32 s21, s36, s60                                // 000000006C84: 85153C24
	s_mov_b64 exec, s[20:21]                                   // 000000006C88: BEFE0114
	global_atomic_add_f32 v6, v117, s[8:9]                     // 000000006C8C: DD348000 00087506
	s_mov_b64 exec, s[36:37]                                   // 000000006C94: BEFE0124
	v_mov_b32_e32 v6, v64                                      // 000000006C98: 7E0C0340
	s_mov_b64 s[60:61], 0                                      // 000000006C9C: BEBC0180
	v_readlane_b32 s82, v3, 8                                  // 000000006CA0: D2890052 00011103
	s_and_b32 s82, s82, 0xffffff                               // 000000006CA8: 8652FF52 00FFFFFF
	s_cmp_lt_u32 s82, s66                                      // 000000006CB0: BF0A4252
	s_cselect_b32 s20, s36, s60                                // 000000006CB4: 85143C24
	v_readlane_b32 s82, v3, 9                                  // 000000006CB8: D2890052 00011303
	s_and_b32 s82, s82, 0xffffff                               // 000000006CC0: 8652FF52 00FFFFFF
	s_cmp_lt_u32 s82, s66                                      // 000000006CC8: BF0A4252
	s_cselect_b32 s21, s36, s60                                // 000000006CCC: 85153C24
	s_mov_b64 exec, s[20:21]                                   // 000000006CD0: BEFE0114
	global_atomic_add_f32 v6, v120, s[8:9]                     // 000000006CD4: DD348000 00087806
	s_mov_b64 exec, s[36:37]                                   // 000000006CDC: BEFE0124
	v_mov_b32_e32 v6, v65                                      // 000000006CE0: 7E0C0341
	s_mov_b64 s[60:61], 0                                      // 000000006CE4: BEBC0180
	v_readlane_b32 s82, v3, 10                                 // 000000006CE8: D2890052 00011503
	s_and_b32 s82, s82, 0xffffff                               // 000000006CF0: 8652FF52 00FFFFFF
	s_cmp_lt_u32 s82, s66                                      // 000000006CF8: BF0A4252
	s_cselect_b32 s20, s36, s60                                // 000000006CFC: 85143C24
	v_readlane_b32 s82, v3, 11                                 // 000000006D00: D2890052 00011703
	s_and_b32 s82, s82, 0xffffff                               // 000000006D08: 8652FF52 00FFFFFF
	s_cmp_lt_u32 s82, s66                                      // 000000006D10: BF0A4252
	s_cselect_b32 s21, s36, s60                                // 000000006D14: 85153C24
	s_mov_b64 exec, s[20:21]                                   // 000000006D18: BEFE0114
	global_atomic_add_f32 v6, v121, s[8:9]                     // 000000006D1C: DD348000 00087906
	s_mov_b64 exec, s[36:37]                                   // 000000006D24: BEFE0124
	v_mov_b32_e32 v6, v66                                      // 000000006D28: 7E0C0342
	s_mov_b64 s[60:61], 0                                      // 000000006D2C: BEBC0180
	v_readlane_b32 s82, v3, 12                                 // 000000006D30: D2890052 00011903
	s_and_b32 s82, s82, 0xffffff                               // 000000006D38: 8652FF52 00FFFFFF
	s_cmp_lt_u32 s82, s66                                      // 000000006D40: BF0A4252
	s_cselect_b32 s20, s36, s60                                // 000000006D44: 85143C24
	v_readlane_b32 s82, v3, 13                                 // 000000006D48: D2890052 00011B03
	s_and_b32 s82, s82, 0xffffff                               // 000000006D50: 8652FF52 00FFFFFF
	s_cmp_lt_u32 s82, s66                                      // 000000006D58: BF0A4252
	s_cselect_b32 s21, s36, s60                                // 000000006D5C: 85153C24
	s_mov_b64 exec, s[20:21]                                   // 000000006D60: BEFE0114
	global_atomic_add_f32 v6, v124, s[8:9]                     // 000000006D64: DD348000 00087C06
	s_mov_b64 exec, s[36:37]                                   // 000000006D6C: BEFE0124
	v_mov_b32_e32 v6, v67                                      // 000000006D70: 7E0C0343
	s_mov_b64 s[60:61], 0                                      // 000000006D74: BEBC0180
	v_readlane_b32 s82, v3, 14                                 // 000000006D78: D2890052 00011D03
	s_and_b32 s82, s82, 0xffffff                               // 000000006D80: 8652FF52 00FFFFFF
	s_cmp_lt_u32 s82, s66                                      // 000000006D88: BF0A4252
	s_cselect_b32 s20, s36, s60                                // 000000006D8C: 85143C24
	v_readlane_b32 s82, v3, 15                                 // 000000006D90: D2890052 00011F03
	s_and_b32 s82, s82, 0xffffff                               // 000000006D98: 8652FF52 00FFFFFF
	s_cmp_lt_u32 s82, s66                                      // 000000006DA0: BF0A4252
	s_cselect_b32 s21, s36, s60                                // 000000006DA4: 85153C24
	s_mov_b64 exec, s[20:21]                                   // 000000006DA8: BEFE0114
	global_atomic_add_f32 v6, v125, s[8:9]                     // 000000006DAC: DD348000 00087D06
	s_mov_b64 exec, s[36:37]                                   // 000000006DB4: BEFE0124
	v_mov_b32_e32 v6, v68                                      // 000000006DB8: 7E0C0344
	s_mov_b64 s[60:61], 0                                      // 000000006DBC: BEBC0180
	v_readlane_b32 s82, v3, 16                                 // 000000006DC0: D2890052 00012103
	s_and_b32 s82, s82, 0xffffff                               // 000000006DC8: 8652FF52 00FFFFFF
	s_cmp_lt_u32 s82, s66                                      // 000000006DD0: BF0A4252
	s_cselect_b32 s20, s36, s60                                // 000000006DD4: 85143C24
	v_readlane_b32 s82, v3, 17                                 // 000000006DD8: D2890052 00012303
	s_and_b32 s82, s82, 0xffffff                               // 000000006DE0: 8652FF52 00FFFFFF
	s_cmp_lt_u32 s82, s66                                      // 000000006DE8: BF0A4252
	s_cselect_b32 s21, s36, s60                                // 000000006DEC: 85153C24
	s_mov_b64 exec, s[20:21]                                   // 000000006DF0: BEFE0114
	global_atomic_add_f32 v6, v128, s[8:9]                     // 000000006DF4: DD348000 00088006
	s_mov_b64 exec, s[36:37]                                   // 000000006DFC: BEFE0124
	v_mov_b32_e32 v6, v69                                      // 000000006E00: 7E0C0345
	s_mov_b64 s[60:61], 0                                      // 000000006E04: BEBC0180
	v_readlane_b32 s82, v3, 18                                 // 000000006E08: D2890052 00012503
	s_and_b32 s82, s82, 0xffffff                               // 000000006E10: 8652FF52 00FFFFFF
	s_cmp_lt_u32 s82, s66                                      // 000000006E18: BF0A4252
	s_cselect_b32 s20, s36, s60                                // 000000006E1C: 85143C24
	v_readlane_b32 s82, v3, 19                                 // 000000006E20: D2890052 00012703
	s_and_b32 s82, s82, 0xffffff                               // 000000006E28: 8652FF52 00FFFFFF
	s_cmp_lt_u32 s82, s66                                      // 000000006E30: BF0A4252
	s_cselect_b32 s21, s36, s60                                // 000000006E34: 85153C24
	s_mov_b64 exec, s[20:21]                                   // 000000006E38: BEFE0114
	global_atomic_add_f32 v6, v129, s[8:9]                     // 000000006E3C: DD348000 00088106
	s_mov_b64 exec, s[36:37]                                   // 000000006E44: BEFE0124
	v_mov_b32_e32 v6, v70                                      // 000000006E48: 7E0C0346
	s_mov_b64 s[60:61], 0                                      // 000000006E4C: BEBC0180
	v_readlane_b32 s82, v3, 20                                 // 000000006E50: D2890052 00012903
	s_and_b32 s82, s82, 0xffffff                               // 000000006E58: 8652FF52 00FFFFFF
	s_cmp_lt_u32 s82, s66                                      // 000000006E60: BF0A4252
	s_cselect_b32 s20, s36, s60                                // 000000006E64: 85143C24
	v_readlane_b32 s82, v3, 21                                 // 000000006E68: D2890052 00012B03
	s_and_b32 s82, s82, 0xffffff                               // 000000006E70: 8652FF52 00FFFFFF
	s_cmp_lt_u32 s82, s66                                      // 000000006E78: BF0A4252
	s_cselect_b32 s21, s36, s60                                // 000000006E7C: 85153C24
	s_mov_b64 exec, s[20:21]                                   // 000000006E80: BEFE0114
	global_atomic_add_f32 v6, v132, s[8:9]                     // 000000006E84: DD348000 00088406
	s_mov_b64 exec, s[36:37]                                   // 000000006E8C: BEFE0124
	v_mov_b32_e32 v6, v71                                      // 000000006E90: 7E0C0347
	s_mov_b64 s[60:61], 0                                      // 000000006E94: BEBC0180
	v_readlane_b32 s82, v3, 22                                 // 000000006E98: D2890052 00012D03
	s_and_b32 s82, s82, 0xffffff                               // 000000006EA0: 8652FF52 00FFFFFF
	s_cmp_lt_u32 s82, s66                                      // 000000006EA8: BF0A4252
	s_cselect_b32 s20, s36, s60                                // 000000006EAC: 85143C24
	v_readlane_b32 s82, v3, 23                                 // 000000006EB0: D2890052 00012F03
	s_and_b32 s82, s82, 0xffffff                               // 000000006EB8: 8652FF52 00FFFFFF
	s_cmp_lt_u32 s82, s66                                      // 000000006EC0: BF0A4252
	s_cselect_b32 s21, s36, s60                                // 000000006EC4: 85153C24
	s_mov_b64 exec, s[20:21]                                   // 000000006EC8: BEFE0114
	global_atomic_add_f32 v6, v133, s[8:9]                     // 000000006ECC: DD348000 00088506
	s_mov_b64 exec, s[36:37]                                   // 000000006ED4: BEFE0124
	v_mov_b32_e32 v6, v72                                      // 000000006ED8: 7E0C0348
	s_mov_b64 s[60:61], 0                                      // 000000006EDC: BEBC0180
	v_readlane_b32 s82, v3, 24                                 // 000000006EE0: D2890052 00013103
	s_and_b32 s82, s82, 0xffffff                               // 000000006EE8: 8652FF52 00FFFFFF
	s_cmp_lt_u32 s82, s66                                      // 000000006EF0: BF0A4252
	s_cselect_b32 s20, s36, s60                                // 000000006EF4: 85143C24
	v_readlane_b32 s82, v3, 25                                 // 000000006EF8: D2890052 00013303
	s_and_b32 s82, s82, 0xffffff                               // 000000006F00: 8652FF52 00FFFFFF
	s_cmp_lt_u32 s82, s66                                      // 000000006F08: BF0A4252
	s_cselect_b32 s21, s36, s60                                // 000000006F0C: 85153C24
	s_mov_b64 exec, s[20:21]                                   // 000000006F10: BEFE0114
	global_atomic_add_f32 v6, v136, s[8:9]                     // 000000006F14: DD348000 00088806
	s_mov_b64 exec, s[36:37]                                   // 000000006F1C: BEFE0124
	v_mov_b32_e32 v6, v73                                      // 000000006F20: 7E0C0349
	s_mov_b64 s[60:61], 0                                      // 000000006F24: BEBC0180
	v_readlane_b32 s82, v3, 26                                 // 000000006F28: D2890052 00013503
	s_and_b32 s82, s82, 0xffffff                               // 000000006F30: 8652FF52 00FFFFFF
	s_cmp_lt_u32 s82, s66                                      // 000000006F38: BF0A4252
	s_cselect_b32 s20, s36, s60                                // 000000006F3C: 85143C24
	v_readlane_b32 s82, v3, 27                                 // 000000006F40: D2890052 00013703
	s_and_b32 s82, s82, 0xffffff                               // 000000006F48: 8652FF52 00FFFFFF
	s_cmp_lt_u32 s82, s66                                      // 000000006F50: BF0A4252
	s_cselect_b32 s21, s36, s60                                // 000000006F54: 85153C24
	s_mov_b64 exec, s[20:21]                                   // 000000006F58: BEFE0114
	global_atomic_add_f32 v6, v137, s[8:9]                     // 000000006F5C: DD348000 00088906
	s_mov_b64 exec, s[36:37]                                   // 000000006F64: BEFE0124
	v_mov_b32_e32 v6, v74                                      // 000000006F68: 7E0C034A
	s_mov_b64 s[60:61], 0                                      // 000000006F6C: BEBC0180
	v_readlane_b32 s82, v3, 28                                 // 000000006F70: D2890052 00013903
	s_and_b32 s82, s82, 0xffffff                               // 000000006F78: 8652FF52 00FFFFFF
	s_cmp_lt_u32 s82, s66                                      // 000000006F80: BF0A4252
	s_cselect_b32 s20, s36, s60                                // 000000006F84: 85143C24
	v_readlane_b32 s82, v3, 29                                 // 000000006F88: D2890052 00013B03
	s_and_b32 s82, s82, 0xffffff                               // 000000006F90: 8652FF52 00FFFFFF
	s_cmp_lt_u32 s82, s66                                      // 000000006F98: BF0A4252
	s_cselect_b32 s21, s36, s60                                // 000000006F9C: 85153C24
	s_mov_b64 exec, s[20:21]                                   // 000000006FA0: BEFE0114
	global_atomic_add_f32 v6, v140, s[8:9]                     // 000000006FA4: DD348000 00088C06
	s_mov_b64 exec, s[36:37]                                   // 000000006FAC: BEFE0124
	v_mov_b32_e32 v6, v75                                      // 000000006FB0: 7E0C034B
	s_mov_b64 s[60:61], 0                                      // 000000006FB4: BEBC0180
	v_readlane_b32 s82, v3, 30                                 // 000000006FB8: D2890052 00013D03
	s_and_b32 s82, s82, 0xffffff                               // 000000006FC0: 8652FF52 00FFFFFF
	s_cmp_lt_u32 s82, s66                                      // 000000006FC8: BF0A4252
	s_cselect_b32 s20, s36, s60                                // 000000006FCC: 85143C24
	v_readlane_b32 s82, v3, 31                                 // 000000006FD0: D2890052 00013F03
	s_and_b32 s82, s82, 0xffffff                               // 000000006FD8: 8652FF52 00FFFFFF
	s_cmp_lt_u32 s82, s66                                      // 000000006FE0: BF0A4252
	s_cselect_b32 s21, s36, s60                                // 000000006FE4: 85153C24
	s_mov_b64 exec, s[20:21]                                   // 000000006FE8: BEFE0114
	global_atomic_add_f32 v6, v141, s[8:9]                     // 000000006FEC: DD348000 00088D06
	s_mov_b64 exec, s[36:37]                                   // 000000006FF4: BEFE0124
	ds_write_b64 v20, v[114:115]                               // 000000006FF8: D89A0000 00007214
	ds_write_b64 v20, v[118:119] offset:2176                   // 000000007000: D89A0880 00007614
	ds_write_b64 v20, v[122:123] offset:4352                   // 000000007008: D89A1100 00007A14
	ds_write_b64 v20, v[126:127] offset:6528                   // 000000007010: D89A1980 00007E14
	ds_write_b64 v20, v[130:131] offset:8704                   // 000000007018: D89A2200 00008214
	ds_write_b64 v20, v[134:135] offset:10880                  // 000000007020: D89A2A80 00008614
	ds_write_b64 v20, v[138:139] offset:13056                  // 000000007028: D89A3300 00008A14
	ds_write_b64 v20, v[142:143] offset:15232                  // 000000007030: D89A3B80 00008E14
	s_waitcnt lgkmcnt(0)                                       // 000000007038: BF8CC07F
	s_barrier                                                  // 00000000703C: BF8A0000
	ds_read_b32 v114, v21                                      // 000000007040: D86C0000 72000015
	ds_read_b32 v115, v21 offset:64                            // 000000007048: D86C0040 73000015
	ds_read_b32 v118, v21 offset:2176                          // 000000007050: D86C0880 76000015
	ds_read_b32 v119, v21 offset:2240                          // 000000007058: D86C08C0 77000015
	ds_read_b32 v122, v21 offset:4352                          // 000000007060: D86C1100 7A000015
	ds_read_b32 v123, v21 offset:4416                          // 000000007068: D86C1140 7B000015
	ds_read_b32 v126, v21 offset:6528                          // 000000007070: D86C1980 7E000015
	ds_read_b32 v127, v21 offset:6592                          // 000000007078: D86C19C0 7F000015
	ds_read_b32 v130, v21 offset:8704                          // 000000007080: D86C2200 82000015
	ds_read_b32 v131, v21 offset:8768                          // 000000007088: D86C2240 83000015
	ds_read_b32 v134, v21 offset:10880                         // 000000007090: D86C2A80 86000015
	ds_read_b32 v135, v21 offset:10944                         // 000000007098: D86C2AC0 87000015
	ds_read_b32 v138, v21 offset:13056                         // 0000000070A0: D86C3300 8A000015
	ds_read_b32 v139, v21 offset:13120                         // 0000000070A8: D86C3340 8B000015
	ds_read_b32 v142, v21 offset:15232                         // 0000000070B0: D86C3B80 8E000015
	ds_read_b32 v143, v21 offset:15296                         // 0000000070B8: D86C3BC0 8F000015
	s_waitcnt lgkmcnt(0)                                       // 0000000070C0: BF8CC07F
	v_mov_b32_e32 v7, 0                                        // 0000000070C4: 7E0E0280
	s_mov_b64 exec, s[36:37]                                   // 0000000070C8: BEFE0124
	v_mov_b32_e32 v6, v60                                      // 0000000070CC: 7E0C033C
	s_mov_b64 s[60:61], 0                                      // 0000000070D0: BEBC0180
	v_readlane_b32 s82, v3, 0                                  // 0000000070D4: D2890052 00010103
	s_and_b32 s82, s82, 0xffffff                               // 0000000070DC: 8652FF52 00FFFFFF
	s_cmp_lt_u32 s82, s66                                      // 0000000070E4: BF0A4252
	s_cselect_b32 s20, s36, s60                                // 0000000070E8: 85143C24
	v_readlane_b32 s82, v3, 1                                  // 0000000070EC: D2890052 00010303
	s_and_b32 s82, s82, 0xffffff                               // 0000000070F4: 8652FF52 00FFFFFF
	s_cmp_lt_u32 s82, s66                                      // 0000000070FC: BF0A4252
	s_cselect_b32 s21, s36, s60                                // 000000007100: 85153C24
	s_mov_b64 exec, s[20:21]                                   // 000000007104: BEFE0114
	global_atomic_add_f32 v6, v114, s[8:9] offset:8            // 000000007108: DD348008 00087206
	s_mov_b64 exec, s[36:37]                                   // 000000007110: BEFE0124
	v_mov_b32_e32 v6, v61                                      // 000000007114: 7E0C033D
	s_mov_b64 s[60:61], 0                                      // 000000007118: BEBC0180
	v_readlane_b32 s82, v3, 2                                  // 00000000711C: D2890052 00010503
	s_and_b32 s82, s82, 0xffffff                               // 000000007124: 8652FF52 00FFFFFF
	s_cmp_lt_u32 s82, s66                                      // 00000000712C: BF0A4252
	s_cselect_b32 s20, s36, s60                                // 000000007130: 85143C24
	v_readlane_b32 s82, v3, 3                                  // 000000007134: D2890052 00010703
	s_and_b32 s82, s82, 0xffffff                               // 00000000713C: 8652FF52 00FFFFFF
	s_cmp_lt_u32 s82, s66                                      // 000000007144: BF0A4252
	s_cselect_b32 s21, s36, s60                                // 000000007148: 85153C24
	s_mov_b64 exec, s[20:21]                                   // 00000000714C: BEFE0114
	global_atomic_add_f32 v6, v115, s[8:9] offset:8            // 000000007150: DD348008 00087306
	s_mov_b64 exec, s[36:37]                                   // 000000007158: BEFE0124
	v_mov_b32_e32 v6, v62                                      // 00000000715C: 7E0C033E
	s_mov_b64 s[60:61], 0                                      // 000000007160: BEBC0180
	v_readlane_b32 s82, v3, 4                                  // 000000007164: D2890052 00010903
	s_and_b32 s82, s82, 0xffffff                               // 00000000716C: 8652FF52 00FFFFFF
	s_cmp_lt_u32 s82, s66                                      // 000000007174: BF0A4252
	s_cselect_b32 s20, s36, s60                                // 000000007178: 85143C24
	v_readlane_b32 s82, v3, 5                                  // 00000000717C: D2890052 00010B03
	s_and_b32 s82, s82, 0xffffff                               // 000000007184: 8652FF52 00FFFFFF
	s_cmp_lt_u32 s82, s66                                      // 00000000718C: BF0A4252
	s_cselect_b32 s21, s36, s60                                // 000000007190: 85153C24
	s_mov_b64 exec, s[20:21]                                   // 000000007194: BEFE0114
	global_atomic_add_f32 v6, v118, s[8:9] offset:8            // 000000007198: DD348008 00087606
	s_mov_b64 exec, s[36:37]                                   // 0000000071A0: BEFE0124
	v_mov_b32_e32 v6, v63                                      // 0000000071A4: 7E0C033F
	s_mov_b64 s[60:61], 0                                      // 0000000071A8: BEBC0180
	v_readlane_b32 s82, v3, 6                                  // 0000000071AC: D2890052 00010D03
	s_and_b32 s82, s82, 0xffffff                               // 0000000071B4: 8652FF52 00FFFFFF
	s_cmp_lt_u32 s82, s66                                      // 0000000071BC: BF0A4252
	s_cselect_b32 s20, s36, s60                                // 0000000071C0: 85143C24
	v_readlane_b32 s82, v3, 7                                  // 0000000071C4: D2890052 00010F03
	s_and_b32 s82, s82, 0xffffff                               // 0000000071CC: 8652FF52 00FFFFFF
	s_cmp_lt_u32 s82, s66                                      // 0000000071D4: BF0A4252
	s_cselect_b32 s21, s36, s60                                // 0000000071D8: 85153C24
	s_mov_b64 exec, s[20:21]                                   // 0000000071DC: BEFE0114
	global_atomic_add_f32 v6, v119, s[8:9] offset:8            // 0000000071E0: DD348008 00087706
	s_mov_b64 exec, s[36:37]                                   // 0000000071E8: BEFE0124
	v_mov_b32_e32 v6, v64                                      // 0000000071EC: 7E0C0340
	s_mov_b64 s[60:61], 0                                      // 0000000071F0: BEBC0180
	v_readlane_b32 s82, v3, 8                                  // 0000000071F4: D2890052 00011103
	s_and_b32 s82, s82, 0xffffff                               // 0000000071FC: 8652FF52 00FFFFFF
	s_cmp_lt_u32 s82, s66                                      // 000000007204: BF0A4252
	s_cselect_b32 s20, s36, s60                                // 000000007208: 85143C24
	v_readlane_b32 s82, v3, 9                                  // 00000000720C: D2890052 00011303
	s_and_b32 s82, s82, 0xffffff                               // 000000007214: 8652FF52 00FFFFFF
	s_cmp_lt_u32 s82, s66                                      // 00000000721C: BF0A4252
	s_cselect_b32 s21, s36, s60                                // 000000007220: 85153C24
	s_mov_b64 exec, s[20:21]                                   // 000000007224: BEFE0114
	global_atomic_add_f32 v6, v122, s[8:9] offset:8            // 000000007228: DD348008 00087A06
	s_mov_b64 exec, s[36:37]                                   // 000000007230: BEFE0124
	v_mov_b32_e32 v6, v65                                      // 000000007234: 7E0C0341
	s_mov_b64 s[60:61], 0                                      // 000000007238: BEBC0180
	v_readlane_b32 s82, v3, 10                                 // 00000000723C: D2890052 00011503
	s_and_b32 s82, s82, 0xffffff                               // 000000007244: 8652FF52 00FFFFFF
	s_cmp_lt_u32 s82, s66                                      // 00000000724C: BF0A4252
	s_cselect_b32 s20, s36, s60                                // 000000007250: 85143C24
	v_readlane_b32 s82, v3, 11                                 // 000000007254: D2890052 00011703
	s_and_b32 s82, s82, 0xffffff                               // 00000000725C: 8652FF52 00FFFFFF
	s_cmp_lt_u32 s82, s66                                      // 000000007264: BF0A4252
	s_cselect_b32 s21, s36, s60                                // 000000007268: 85153C24
	s_mov_b64 exec, s[20:21]                                   // 00000000726C: BEFE0114
	global_atomic_add_f32 v6, v123, s[8:9] offset:8            // 000000007270: DD348008 00087B06
	s_mov_b64 exec, s[36:37]                                   // 000000007278: BEFE0124
	v_mov_b32_e32 v6, v66                                      // 00000000727C: 7E0C0342
	s_mov_b64 s[60:61], 0                                      // 000000007280: BEBC0180
	v_readlane_b32 s82, v3, 12                                 // 000000007284: D2890052 00011903
	s_and_b32 s82, s82, 0xffffff                               // 00000000728C: 8652FF52 00FFFFFF
	s_cmp_lt_u32 s82, s66                                      // 000000007294: BF0A4252
	s_cselect_b32 s20, s36, s60                                // 000000007298: 85143C24
	v_readlane_b32 s82, v3, 13                                 // 00000000729C: D2890052 00011B03
	s_and_b32 s82, s82, 0xffffff                               // 0000000072A4: 8652FF52 00FFFFFF
	s_cmp_lt_u32 s82, s66                                      // 0000000072AC: BF0A4252
	s_cselect_b32 s21, s36, s60                                // 0000000072B0: 85153C24
	s_mov_b64 exec, s[20:21]                                   // 0000000072B4: BEFE0114
	global_atomic_add_f32 v6, v126, s[8:9] offset:8            // 0000000072B8: DD348008 00087E06
	s_mov_b64 exec, s[36:37]                                   // 0000000072C0: BEFE0124
	v_mov_b32_e32 v6, v67                                      // 0000000072C4: 7E0C0343
	s_mov_b64 s[60:61], 0                                      // 0000000072C8: BEBC0180
	v_readlane_b32 s82, v3, 14                                 // 0000000072CC: D2890052 00011D03
	s_and_b32 s82, s82, 0xffffff                               // 0000000072D4: 8652FF52 00FFFFFF
	s_cmp_lt_u32 s82, s66                                      // 0000000072DC: BF0A4252
	s_cselect_b32 s20, s36, s60                                // 0000000072E0: 85143C24
	v_readlane_b32 s82, v3, 15                                 // 0000000072E4: D2890052 00011F03
	s_and_b32 s82, s82, 0xffffff                               // 0000000072EC: 8652FF52 00FFFFFF
	s_cmp_lt_u32 s82, s66                                      // 0000000072F4: BF0A4252
	s_cselect_b32 s21, s36, s60                                // 0000000072F8: 85153C24
	s_mov_b64 exec, s[20:21]                                   // 0000000072FC: BEFE0114
	global_atomic_add_f32 v6, v127, s[8:9] offset:8            // 000000007300: DD348008 00087F06
	s_mov_b64 exec, s[36:37]                                   // 000000007308: BEFE0124
	v_mov_b32_e32 v6, v68                                      // 00000000730C: 7E0C0344
	s_mov_b64 s[60:61], 0                                      // 000000007310: BEBC0180
	v_readlane_b32 s82, v3, 16                                 // 000000007314: D2890052 00012103
	s_and_b32 s82, s82, 0xffffff                               // 00000000731C: 8652FF52 00FFFFFF
	s_cmp_lt_u32 s82, s66                                      // 000000007324: BF0A4252
	s_cselect_b32 s20, s36, s60                                // 000000007328: 85143C24
	v_readlane_b32 s82, v3, 17                                 // 00000000732C: D2890052 00012303
	s_and_b32 s82, s82, 0xffffff                               // 000000007334: 8652FF52 00FFFFFF
	s_cmp_lt_u32 s82, s66                                      // 00000000733C: BF0A4252
	s_cselect_b32 s21, s36, s60                                // 000000007340: 85153C24
	s_mov_b64 exec, s[20:21]                                   // 000000007344: BEFE0114
	global_atomic_add_f32 v6, v130, s[8:9] offset:8            // 000000007348: DD348008 00088206
	s_mov_b64 exec, s[36:37]                                   // 000000007350: BEFE0124
	v_mov_b32_e32 v6, v69                                      // 000000007354: 7E0C0345
	s_mov_b64 s[60:61], 0                                      // 000000007358: BEBC0180
	v_readlane_b32 s82, v3, 18                                 // 00000000735C: D2890052 00012503
	s_and_b32 s82, s82, 0xffffff                               // 000000007364: 8652FF52 00FFFFFF
	s_cmp_lt_u32 s82, s66                                      // 00000000736C: BF0A4252
	s_cselect_b32 s20, s36, s60                                // 000000007370: 85143C24
	v_readlane_b32 s82, v3, 19                                 // 000000007374: D2890052 00012703
	s_and_b32 s82, s82, 0xffffff                               // 00000000737C: 8652FF52 00FFFFFF
	s_cmp_lt_u32 s82, s66                                      // 000000007384: BF0A4252
	s_cselect_b32 s21, s36, s60                                // 000000007388: 85153C24
	s_mov_b64 exec, s[20:21]                                   // 00000000738C: BEFE0114
	global_atomic_add_f32 v6, v131, s[8:9] offset:8            // 000000007390: DD348008 00088306
	s_mov_b64 exec, s[36:37]                                   // 000000007398: BEFE0124
	v_mov_b32_e32 v6, v70                                      // 00000000739C: 7E0C0346
	s_mov_b64 s[60:61], 0                                      // 0000000073A0: BEBC0180
	v_readlane_b32 s82, v3, 20                                 // 0000000073A4: D2890052 00012903
	s_and_b32 s82, s82, 0xffffff                               // 0000000073AC: 8652FF52 00FFFFFF
	s_cmp_lt_u32 s82, s66                                      // 0000000073B4: BF0A4252
	s_cselect_b32 s20, s36, s60                                // 0000000073B8: 85143C24
	v_readlane_b32 s82, v3, 21                                 // 0000000073BC: D2890052 00012B03
	s_and_b32 s82, s82, 0xffffff                               // 0000000073C4: 8652FF52 00FFFFFF
	s_cmp_lt_u32 s82, s66                                      // 0000000073CC: BF0A4252
	s_cselect_b32 s21, s36, s60                                // 0000000073D0: 85153C24
	s_mov_b64 exec, s[20:21]                                   // 0000000073D4: BEFE0114
	global_atomic_add_f32 v6, v134, s[8:9] offset:8            // 0000000073D8: DD348008 00088606
	s_mov_b64 exec, s[36:37]                                   // 0000000073E0: BEFE0124
	v_mov_b32_e32 v6, v71                                      // 0000000073E4: 7E0C0347
	s_mov_b64 s[60:61], 0                                      // 0000000073E8: BEBC0180
	v_readlane_b32 s82, v3, 22                                 // 0000000073EC: D2890052 00012D03
	s_and_b32 s82, s82, 0xffffff                               // 0000000073F4: 8652FF52 00FFFFFF
	s_cmp_lt_u32 s82, s66                                      // 0000000073FC: BF0A4252
	s_cselect_b32 s20, s36, s60                                // 000000007400: 85143C24
	v_readlane_b32 s82, v3, 23                                 // 000000007404: D2890052 00012F03
	s_and_b32 s82, s82, 0xffffff                               // 00000000740C: 8652FF52 00FFFFFF
	s_cmp_lt_u32 s82, s66                                      // 000000007414: BF0A4252
	s_cselect_b32 s21, s36, s60                                // 000000007418: 85153C24
	s_mov_b64 exec, s[20:21]                                   // 00000000741C: BEFE0114
	global_atomic_add_f32 v6, v135, s[8:9] offset:8            // 000000007420: DD348008 00088706
	s_mov_b64 exec, s[36:37]                                   // 000000007428: BEFE0124
	v_mov_b32_e32 v6, v72                                      // 00000000742C: 7E0C0348
	s_mov_b64 s[60:61], 0                                      // 000000007430: BEBC0180
	v_readlane_b32 s82, v3, 24                                 // 000000007434: D2890052 00013103
	s_and_b32 s82, s82, 0xffffff                               // 00000000743C: 8652FF52 00FFFFFF
	s_cmp_lt_u32 s82, s66                                      // 000000007444: BF0A4252
	s_cselect_b32 s20, s36, s60                                // 000000007448: 85143C24
	v_readlane_b32 s82, v3, 25                                 // 00000000744C: D2890052 00013303
	s_and_b32 s82, s82, 0xffffff                               // 000000007454: 8652FF52 00FFFFFF
	s_cmp_lt_u32 s82, s66                                      // 00000000745C: BF0A4252
	s_cselect_b32 s21, s36, s60                                // 000000007460: 85153C24
	s_mov_b64 exec, s[20:21]                                   // 000000007464: BEFE0114
	global_atomic_add_f32 v6, v138, s[8:9] offset:8            // 000000007468: DD348008 00088A06
	s_mov_b64 exec, s[36:37]                                   // 000000007470: BEFE0124
	v_mov_b32_e32 v6, v73                                      // 000000007474: 7E0C0349
	s_mov_b64 s[60:61], 0                                      // 000000007478: BEBC0180
	v_readlane_b32 s82, v3, 26                                 // 00000000747C: D2890052 00013503
	s_and_b32 s82, s82, 0xffffff                               // 000000007484: 8652FF52 00FFFFFF
	s_cmp_lt_u32 s82, s66                                      // 00000000748C: BF0A4252
	s_cselect_b32 s20, s36, s60                                // 000000007490: 85143C24
	v_readlane_b32 s82, v3, 27                                 // 000000007494: D2890052 00013703
	s_and_b32 s82, s82, 0xffffff                               // 00000000749C: 8652FF52 00FFFFFF
	s_cmp_lt_u32 s82, s66                                      // 0000000074A4: BF0A4252
	s_cselect_b32 s21, s36, s60                                // 0000000074A8: 85153C24
	s_mov_b64 exec, s[20:21]                                   // 0000000074AC: BEFE0114
	global_atomic_add_f32 v6, v139, s[8:9] offset:8            // 0000000074B0: DD348008 00088B06
	s_mov_b64 exec, s[36:37]                                   // 0000000074B8: BEFE0124
	v_mov_b32_e32 v6, v74                                      // 0000000074BC: 7E0C034A
	s_mov_b64 s[60:61], 0                                      // 0000000074C0: BEBC0180
	v_readlane_b32 s82, v3, 28                                 // 0000000074C4: D2890052 00013903
	s_and_b32 s82, s82, 0xffffff                               // 0000000074CC: 8652FF52 00FFFFFF
	s_cmp_lt_u32 s82, s66                                      // 0000000074D4: BF0A4252
	s_cselect_b32 s20, s36, s60                                // 0000000074D8: 85143C24
	v_readlane_b32 s82, v3, 29                                 // 0000000074DC: D2890052 00013B03
	s_and_b32 s82, s82, 0xffffff                               // 0000000074E4: 8652FF52 00FFFFFF
	s_cmp_lt_u32 s82, s66                                      // 0000000074EC: BF0A4252
	s_cselect_b32 s21, s36, s60                                // 0000000074F0: 85153C24
	s_mov_b64 exec, s[20:21]                                   // 0000000074F4: BEFE0114
	global_atomic_add_f32 v6, v142, s[8:9] offset:8            // 0000000074F8: DD348008 00088E06
	s_mov_b64 exec, s[36:37]                                   // 000000007500: BEFE0124
	v_mov_b32_e32 v6, v75                                      // 000000007504: 7E0C034B
	s_mov_b64 s[60:61], 0                                      // 000000007508: BEBC0180
	v_readlane_b32 s82, v3, 30                                 // 00000000750C: D2890052 00013D03
	s_and_b32 s82, s82, 0xffffff                               // 000000007514: 8652FF52 00FFFFFF
	s_cmp_lt_u32 s82, s66                                      // 00000000751C: BF0A4252
	s_cselect_b32 s20, s36, s60                                // 000000007520: 85143C24
	v_readlane_b32 s82, v3, 31                                 // 000000007524: D2890052 00013F03
	s_and_b32 s82, s82, 0xffffff                               // 00000000752C: 8652FF52 00FFFFFF
	s_cmp_lt_u32 s82, s66                                      // 000000007534: BF0A4252
	s_cselect_b32 s21, s36, s60                                // 000000007538: 85153C24
	s_mov_b64 exec, s[20:21]                                   // 00000000753C: BEFE0114
	global_atomic_add_f32 v6, v143, s[8:9] offset:8            // 000000007540: DD348008 00088F06
	s_mov_b64 exec, s[36:37]                                   // 000000007548: BEFE0124
	s_branch label_2263                                        // 00000000754C: BF820F8C

0000000000007550 <label_12D7>:
	s_waitcnt vmcnt(0) lgkmcnt(0)                              // 000000007550: BF8C0070
	s_barrier                                                  // 000000007554: BF8A0000
	v_mfma_f32_16x16x32_fp8_fp8 v[80:83], a[128:129], a[0:1], v[80:83]// 000000007558: D3F30050 1D420180
	buffer_load_dwordx4 a[136:139], v76, s[84:87], 0 offen     // 000000007560: E05C1000 8095884C
	v_mfma_f32_16x16x32_fp8_fp8 v[80:83], a[130:131], a[2:3], v[80:83]// 000000007568: D3F30050 1D420582
	v_mfma_f32_16x16x32_fp8_fp8 v[80:83], a[132:133], a[4:5], v[80:83]// 000000007570: D3F30050 1D420984
	v_mfma_f32_16x16x32_fp8_fp8 v[80:83], a[134:135], a[6:7], v[80:83]// 000000007578: D3F30050 1D420D86
	v_mfma_f32_16x16x32_fp8_fp8 v[84:87], a[128:129], a[8:9], v[84:87]// 000000007580: D3F30054 1D521180
	buffer_load_dwordx4 a[140:143], v76, s[84:87], 0 offen offset:1024// 000000007588: E05C1400 80958C4C
	buffer_load_dword v60, s[20:23], 0 offen lds               // 000000007590: E0511000 8005003C
	s_add_u32 m0, 0x100, s48                                   // 000000007598: 807C30FF 00000100
	v_mfma_f32_16x16x32_fp8_fp8 v[84:87], a[130:131], a[10:11], v[84:87]// 0000000075A0: D3F30054 1D521582
	v_mfma_f32_16x16x32_fp8_fp8 v[84:87], a[132:133], a[12:13], v[84:87]// 0000000075A8: D3F30054 1D521984
	buffer_load_dword v61, s[20:23], 0 offen lds               // 0000000075B0: E0511000 8005003D
	s_add_u32 m0, 0x200, s48                                   // 0000000075B8: 807C30FF 00000200
	v_mfma_f32_16x16x32_fp8_fp8 v[84:87], a[134:135], a[14:15], v[84:87]// 0000000075C0: D3F30054 1D521D86
	v_mfma_f32_16x16x32_fp8_fp8 v[88:91], a[128:129], a[16:17], v[88:91]// 0000000075C8: D3F30058 1D622180
	buffer_load_dword v62, s[20:23], 0 offen lds               // 0000000075D0: E0511000 8005003E
	s_add_u32 m0, 0x300, s48                                   // 0000000075D8: 807C30FF 00000300
	v_mfma_f32_16x16x32_fp8_fp8 v[88:91], a[130:131], a[18:19], v[88:91]// 0000000075E0: D3F30058 1D622582
	v_mfma_f32_16x16x32_fp8_fp8 v[88:91], a[132:133], a[20:21], v[88:91]// 0000000075E8: D3F30058 1D622984
	buffer_load_dword v63, s[20:23], 0 offen lds               // 0000000075F0: E0511000 8005003F
	s_add_u32 m0, 0x400, s48                                   // 0000000075F8: 807C30FF 00000400
	v_mfma_f32_16x16x32_fp8_fp8 v[88:91], a[134:135], a[22:23], v[88:91]// 000000007600: D3F30058 1D622D86
	v_mfma_f32_16x16x32_fp8_fp8 v[92:95], a[128:129], a[24:25], v[92:95]// 000000007608: D3F3005C 1D723180
	buffer_load_dword v64, s[20:23], 0 offen lds               // 000000007610: E0511000 80050040
	s_add_u32 m0, 0x500, s48                                   // 000000007618: 807C30FF 00000500
	v_mfma_f32_16x16x32_fp8_fp8 v[92:95], a[130:131], a[26:27], v[92:95]// 000000007620: D3F3005C 1D723582
	v_mfma_f32_16x16x32_fp8_fp8 v[92:95], a[132:133], a[28:29], v[92:95]// 000000007628: D3F3005C 1D723984
	buffer_load_dword v65, s[20:23], 0 offen lds               // 000000007630: E0511000 80050041
	s_add_u32 m0, 0x600, s48                                   // 000000007638: 807C30FF 00000600
	v_mfma_f32_16x16x32_fp8_fp8 v[92:95], a[134:135], a[30:31], v[92:95]// 000000007640: D3F3005C 1D723D86
	v_mfma_f32_16x16x32_fp8_fp8 v[96:99], a[128:129], a[32:33], v[96:99]// 000000007648: D3F30060 1D824180
	v_mfma_f32_16x16x32_fp8_fp8 v[96:99], a[130:131], a[34:35], v[96:99]// 000000007650: D3F30060 1D824582
	v_mfma_f32_16x16x32_fp8_fp8 v[96:99], a[132:133], a[36:37], v[96:99]// 000000007658: D3F30060 1D824984
	v_mfma_f32_16x16x32_fp8_fp8 v[96:99], a[134:135], a[38:39], v[96:99]// 000000007660: D3F30060 1D824D86
	v_mfma_f32_16x16x32_fp8_fp8 v[100:103], a[128:129], a[40:41], v[100:103]// 000000007668: D3F30064 1D925180
	buffer_load_dword v66, s[20:23], 0 offen lds               // 000000007670: E0511000 80050042
	s_add_u32 m0, 0x700, s48                                   // 000000007678: 807C30FF 00000700
	v_mfma_f32_16x16x32_fp8_fp8 v[100:103], a[130:131], a[42:43], v[100:103]// 000000007680: D3F30064 1D925582
	v_mfma_f32_16x16x32_fp8_fp8 v[100:103], a[132:133], a[44:45], v[100:103]// 000000007688: D3F30064 1D925984
	buffer_load_dword v67, s[20:23], 0 offen lds               // 000000007690: E0511000 80050043
	s_add_u32 m0, 0x800, s48                                   // 000000007698: 807C30FF 00000800
	v_mfma_f32_16x16x32_fp8_fp8 v[100:103], a[134:135], a[46:47], v[100:103]// 0000000076A0: D3F30064 1D925D86
	v_mfma_f32_16x16x32_fp8_fp8 v[104:107], a[128:129], a[48:49], v[104:107]// 0000000076A8: D3F30068 1DA26180
	v_mfma_f32_16x16x32_fp8_fp8 v[104:107], a[130:131], a[50:51], v[104:107]// 0000000076B0: D3F30068 1DA26582
	v_mfma_f32_16x16x32_fp8_fp8 v[104:107], a[132:133], a[52:53], v[104:107]// 0000000076B8: D3F30068 1DA26984
	v_mfma_f32_16x16x32_fp8_fp8 v[104:107], a[134:135], a[54:55], v[104:107]// 0000000076C0: D3F30068 1DA26D86
	v_mfma_f32_16x16x32_fp8_fp8 v[108:111], a[128:129], a[56:57], v[108:111]// 0000000076C8: D3F3006C 1DB27180
	buffer_load_dword v68, s[20:23], 0 offen lds               // 0000000076D0: E0511000 80050044
	s_add_u32 m0, 0x900, s48                                   // 0000000076D8: 807C30FF 00000900
	v_mfma_f32_16x16x32_fp8_fp8 v[108:111], a[130:131], a[58:59], v[108:111]// 0000000076E0: D3F3006C 1DB27582
	s_add_u32 s60, 0x80, s80                                   // 0000000076E8: 803C50FF 00000080
	s_cmp_lt_u32 s60, s81                                      // 0000000076F0: BF0A513C
	s_cselect_b32 s83, s83, 0                                  // 0000000076F4: 85538053
	v_mfma_f32_16x16x32_fp8_fp8 v[108:111], a[132:133], a[60:61], v[108:111]// 0000000076F8: D3F3006C 1DB27984
	buffer_load_dword v69, s[20:23], 0 offen lds               // 000000007700: E0511000 80050045
	s_add_u32 m0, 0xa00, s48                                   // 000000007708: 807C30FF 00000A00
	v_mfma_f32_16x16x32_fp8_fp8 v[108:111], a[134:135], a[62:63], v[108:111]// 000000007710: D3F3006C 1DB27D86
	buffer_load_dword v70, s[20:23], 0 offen lds               // 000000007718: E0511000 80050046
	s_add_u32 m0, 0xb00, s48                                   // 000000007720: 807C30FF 00000B00
	buffer_load_dword v71, s[20:23], 0 offen lds               // 000000007728: E0511000 80050047
	s_add_u32 m0, 0xc00, s48                                   // 000000007730: 807C30FF 00000C00
	buffer_load_dword v72, s[20:23], 0 offen lds               // 000000007738: E0511000 80050048
	s_add_u32 m0, 0xd00, s48                                   // 000000007740: 807C30FF 00000D00
	buffer_load_dword v73, s[20:23], 0 offen lds               // 000000007748: E0511000 80050049
	s_add_u32 m0, 0xe00, s48                                   // 000000007750: 807C30FF 00000E00
	buffer_load_dword v74, s[20:23], 0 offen lds               // 000000007758: E0511000 8005004A
	s_add_u32 m0, 0xf00, s48                                   // 000000007760: 807C30FF 00000F00
	buffer_load_dword v75, s[20:23], 0 offen lds               // 000000007768: E0511000 8005004B
	s_add_u32 m0, 0, s49                                       // 000000007770: 807C3180
	s_waitcnt vmcnt(16)                                        // 000000007774: BF8C4F70
	v_mfma_f32_16x16x32_fp8_fp8 v[112:115], a[136:137], a[0:1], v[112:115]// 000000007778: D3F30070 1DC20188
	buffer_load_dwordx4 a[128:131], v76, s[24:27], 0 offen     // 000000007780: E05C1000 8086804C
	v_mfma_f32_16x16x32_fp8_fp8 v[112:115], a[138:139], a[2:3], v[112:115]// 000000007788: D3F30070 1DC2058A
	v_mfma_f32_16x16x32_fp8_fp8 v[112:115], a[140:141], a[4:5], v[112:115]// 000000007790: D3F30070 1DC2098C
	ds_read_b128 a[64:67], v2 offset:16512                     // 000000007798: DBFE4080 40000002
	ds_read_b128 a[68:71], v2 offset:16576                     // 0000000077A0: DBFE40C0 44000002
	v_mfma_f32_16x16x32_fp8_fp8 v[112:115], a[142:143], a[6:7], v[112:115]// 0000000077A8: D3F30070 1DC20D8E
	v_mfma_f32_16x16x32_fp8_fp8 v[116:119], a[136:137], a[8:9], v[116:119]// 0000000077B0: D3F30074 1DD21188
	buffer_load_dwordx4 a[132:135], v76, s[24:27], 0 offen offset:1024// 0000000077B8: E05C1400 8086844C
	v_mfma_f32_16x16x32_fp8_fp8 v[116:119], a[138:139], a[10:11], v[116:119]// 0000000077C0: D3F30074 1DD2158A
	v_mfma_f32_16x16x32_fp8_fp8 v[116:119], a[140:141], a[12:13], v[116:119]// 0000000077C8: D3F30074 1DD2198C
	ds_read_b128 a[72:75], v2 offset:17024                     // 0000000077D0: DBFE4280 48000002
	ds_read_b128 a[76:79], v2 offset:17088                     // 0000000077D8: DBFE42C0 4C000002
	v_mfma_f32_16x16x32_fp8_fp8 v[116:119], a[142:143], a[14:15], v[116:119]// 0000000077E0: D3F30074 1DD21D8E
	v_mfma_f32_16x16x32_fp8_fp8 v[120:123], a[136:137], a[16:17], v[120:123]// 0000000077E8: D3F30078 1DE22188
	v_mfma_f32_16x16x32_fp8_fp8 v[120:123], a[138:139], a[18:19], v[120:123]// 0000000077F0: D3F30078 1DE2258A
	v_mfma_f32_16x16x32_fp8_fp8 v[120:123], a[140:141], a[20:21], v[120:123]// 0000000077F8: D3F30078 1DE2298C
	ds_read_b128 a[80:83], v2 offset:17536                     // 000000007800: DBFE4480 50000002
	ds_read_b128 a[84:87], v2 offset:17600                     // 000000007808: DBFE44C0 54000002
	v_mfma_f32_16x16x32_fp8_fp8 v[120:123], a[142:143], a[22:23], v[120:123]// 000000007810: D3F30078 1DE22D8E
	v_mfma_f32_16x16x32_fp8_fp8 v[124:127], a[136:137], a[24:25], v[124:127]// 000000007818: D3F3007C 1DF23188
	v_mfma_f32_16x16x32_fp8_fp8 v[124:127], a[138:139], a[26:27], v[124:127]// 000000007820: D3F3007C 1DF2358A
	v_mfma_f32_16x16x32_fp8_fp8 v[124:127], a[140:141], a[28:29], v[124:127]// 000000007828: D3F3007C 1DF2398C
	ds_read_b128 a[88:91], v2 offset:18048                     // 000000007830: DBFE4680 58000002
	ds_read_b128 a[92:95], v2 offset:18112                     // 000000007838: DBFE46C0 5C000002
	v_mfma_f32_16x16x32_fp8_fp8 v[124:127], a[142:143], a[30:31], v[124:127]// 000000007840: D3F3007C 1DF23D8E
	v_mfma_f32_16x16x32_fp8_fp8 v[128:131], a[136:137], a[32:33], v[128:131]// 000000007848: D3F30080 1E024188
	v_mfma_f32_16x16x32_fp8_fp8 v[128:131], a[138:139], a[34:35], v[128:131]// 000000007850: D3F30080 1E02458A
	v_mfma_f32_16x16x32_fp8_fp8 v[128:131], a[140:141], a[36:37], v[128:131]// 000000007858: D3F30080 1E02498C
	ds_read_b128 a[96:99], v2 offset:18560                     // 000000007860: DBFE4880 60000002
	ds_read_b128 a[100:103], v2 offset:18624                   // 000000007868: DBFE48C0 64000002
	v_mfma_f32_16x16x32_fp8_fp8 v[128:131], a[142:143], a[38:39], v[128:131]// 000000007870: D3F30080 1E024D8E
	v_mfma_f32_16x16x32_fp8_fp8 v[132:135], a[136:137], a[40:41], v[132:135]// 000000007878: D3F30084 1E125188
	v_mfma_f32_16x16x32_fp8_fp8 v[132:135], a[138:139], a[42:43], v[132:135]// 000000007880: D3F30084 1E12558A
	v_mfma_f32_16x16x32_fp8_fp8 v[132:135], a[140:141], a[44:45], v[132:135]// 000000007888: D3F30084 1E12598C
	ds_read_b128 a[104:107], v2 offset:19072                   // 000000007890: DBFE4A80 68000002
	ds_read_b128 a[108:111], v2 offset:19136                   // 000000007898: DBFE4AC0 6C000002
	v_mfma_f32_16x16x32_fp8_fp8 v[132:135], a[142:143], a[46:47], v[132:135]// 0000000078A0: D3F30084 1E125D8E
	v_mfma_f32_16x16x32_fp8_fp8 v[136:139], a[136:137], a[48:49], v[136:139]// 0000000078A8: D3F30088 1E226188
	v_mfma_f32_16x16x32_fp8_fp8 v[136:139], a[138:139], a[50:51], v[136:139]// 0000000078B0: D3F30088 1E22658A
	v_mfma_f32_16x16x32_fp8_fp8 v[136:139], a[140:141], a[52:53], v[136:139]// 0000000078B8: D3F30088 1E22698C
	ds_read_b128 a[112:115], v2 offset:19584                   // 0000000078C0: DBFE4C80 70000002
	ds_read_b128 a[116:119], v2 offset:19648                   // 0000000078C8: DBFE4CC0 74000002
	s_add_u32 s60, 0x180, s80                                  // 0000000078D0: 803C50FF 00000180
	s_cmp_lt_u32 s60, s81                                      // 0000000078D8: BF0A513C
	s_cselect_b32 s57, s57, 0                                  // 0000000078DC: 85398039
	v_mfma_f32_16x16x32_fp8_fp8 v[136:139], a[142:143], a[54:55], v[136:139]// 0000000078E0: D3F30088 1E226D8E
	s_add_u32 s60, 0x100, s80                                  // 0000000078E8: 803C50FF 00000100
	s_cmp_lt_u32 s60, s81                                      // 0000000078F0: BF0A513C
	s_cselect_b32 s58, s58, 0                                  // 0000000078F4: 853A803A
	v_mfma_f32_16x16x32_fp8_fp8 v[140:143], a[136:137], a[56:57], v[140:143]// 0000000078F8: D3F3008C 1E327188
	s_add_u32 s24, s58, s24                                    // 000000007900: 8018183A
	s_addc_u32 s25, 0, s25                                     // 000000007904: 82191980
	v_mfma_f32_16x16x32_fp8_fp8 v[140:143], a[138:139], a[58:59], v[140:143]// 000000007908: D3F3008C 1E32758A
	s_add_u32 s20, s57, s20                                    // 000000007910: 80141439
	s_addc_u32 s21, 0, s21                                     // 000000007914: 82151580
	v_mfma_f32_16x16x32_fp8_fp8 v[140:143], a[140:141], a[60:61], v[140:143]// 000000007918: D3F3008C 1E32798C
	ds_read_b128 a[120:123], v2 offset:20096                   // 000000007920: DBFE4E80 78000002
	ds_read_b128 a[124:127], v2 offset:20160                   // 000000007928: DBFE4EC0 7C000002
	s_add_u32 s84, s83, s84                                    // 000000007930: 80545453
	s_addc_u32 s85, 0, s85                                     // 000000007934: 82555580
	v_mfma_f32_16x16x32_fp8_fp8 v[140:143], a[142:143], a[62:63], v[140:143]// 000000007938: D3F3008C 1E327D8E
	s_addk_i32 s80, 0x80                                       // 000000007940: B7500080
	s_cmp_lt_i32 s80, s81                                      // 000000007944: BF045150
	s_cbranch_scc0 label_14D6                                  // 000000007948: BF840100
	s_waitcnt vmcnt(0) lgkmcnt(0)                              // 00000000794C: BF8C0070
	s_barrier                                                  // 000000007950: BF8A0000
	v_mfma_f32_16x16x32_fp8_fp8 v[80:83], a[128:129], a[64:65], v[80:83]// 000000007954: D3F30050 1D428180
	buffer_load_dwordx4 a[136:139], v76, s[84:87], 0 offen     // 00000000795C: E05C1000 8095884C
	v_mfma_f32_16x16x32_fp8_fp8 v[80:83], a[130:131], a[66:67], v[80:83]// 000000007964: D3F30050 1D428582
	v_mfma_f32_16x16x32_fp8_fp8 v[80:83], a[132:133], a[68:69], v[80:83]// 00000000796C: D3F30050 1D428984
	v_mfma_f32_16x16x32_fp8_fp8 v[80:83], a[134:135], a[70:71], v[80:83]// 000000007974: D3F30050 1D428D86
	v_mfma_f32_16x16x32_fp8_fp8 v[84:87], a[128:129], a[72:73], v[84:87]// 00000000797C: D3F30054 1D529180
	buffer_load_dwordx4 a[140:143], v76, s[84:87], 0 offen offset:1024// 000000007984: E05C1400 80958C4C
	buffer_load_dword v60, s[20:23], 0 offen lds               // 00000000798C: E0511000 8005003C
	s_add_u32 m0, 0x100, s49                                   // 000000007994: 807C31FF 00000100
	v_mfma_f32_16x16x32_fp8_fp8 v[84:87], a[130:131], a[74:75], v[84:87]// 00000000799C: D3F30054 1D529582
	v_mfma_f32_16x16x32_fp8_fp8 v[84:87], a[132:133], a[76:77], v[84:87]// 0000000079A4: D3F30054 1D529984
	buffer_load_dword v61, s[20:23], 0 offen lds               // 0000000079AC: E0511000 8005003D
	s_add_u32 m0, 0x200, s49                                   // 0000000079B4: 807C31FF 00000200
	v_mfma_f32_16x16x32_fp8_fp8 v[84:87], a[134:135], a[78:79], v[84:87]// 0000000079BC: D3F30054 1D529D86
	v_mfma_f32_16x16x32_fp8_fp8 v[88:91], a[128:129], a[80:81], v[88:91]// 0000000079C4: D3F30058 1D62A180
	buffer_load_dword v62, s[20:23], 0 offen lds               // 0000000079CC: E0511000 8005003E
	s_add_u32 m0, 0x300, s49                                   // 0000000079D4: 807C31FF 00000300
	v_mfma_f32_16x16x32_fp8_fp8 v[88:91], a[130:131], a[82:83], v[88:91]// 0000000079DC: D3F30058 1D62A582
	v_mfma_f32_16x16x32_fp8_fp8 v[88:91], a[132:133], a[84:85], v[88:91]// 0000000079E4: D3F30058 1D62A984
	buffer_load_dword v63, s[20:23], 0 offen lds               // 0000000079EC: E0511000 8005003F
	s_add_u32 m0, 0x400, s49                                   // 0000000079F4: 807C31FF 00000400
	v_mfma_f32_16x16x32_fp8_fp8 v[88:91], a[134:135], a[86:87], v[88:91]// 0000000079FC: D3F30058 1D62AD86
	v_mfma_f32_16x16x32_fp8_fp8 v[92:95], a[128:129], a[88:89], v[92:95]// 000000007A04: D3F3005C 1D72B180
	buffer_load_dword v64, s[20:23], 0 offen lds               // 000000007A0C: E0511000 80050040
	s_add_u32 m0, 0x500, s49                                   // 000000007A14: 807C31FF 00000500
	v_mfma_f32_16x16x32_fp8_fp8 v[92:95], a[130:131], a[90:91], v[92:95]// 000000007A1C: D3F3005C 1D72B582
	v_mfma_f32_16x16x32_fp8_fp8 v[92:95], a[132:133], a[92:93], v[92:95]// 000000007A24: D3F3005C 1D72B984
	buffer_load_dword v65, s[20:23], 0 offen lds               // 000000007A2C: E0511000 80050041
	s_add_u32 m0, 0x600, s49                                   // 000000007A34: 807C31FF 00000600
	v_mfma_f32_16x16x32_fp8_fp8 v[92:95], a[134:135], a[94:95], v[92:95]// 000000007A3C: D3F3005C 1D72BD86
	v_mfma_f32_16x16x32_fp8_fp8 v[96:99], a[128:129], a[96:97], v[96:99]// 000000007A44: D3F30060 1D82C180
	v_mfma_f32_16x16x32_fp8_fp8 v[96:99], a[130:131], a[98:99], v[96:99]// 000000007A4C: D3F30060 1D82C582
	v_mfma_f32_16x16x32_fp8_fp8 v[96:99], a[132:133], a[100:101], v[96:99]// 000000007A54: D3F30060 1D82C984
	v_mfma_f32_16x16x32_fp8_fp8 v[96:99], a[134:135], a[102:103], v[96:99]// 000000007A5C: D3F30060 1D82CD86
	v_mfma_f32_16x16x32_fp8_fp8 v[100:103], a[128:129], a[104:105], v[100:103]// 000000007A64: D3F30064 1D92D180
	buffer_load_dword v66, s[20:23], 0 offen lds               // 000000007A6C: E0511000 80050042
	s_add_u32 m0, 0x700, s49                                   // 000000007A74: 807C31FF 00000700
	v_mfma_f32_16x16x32_fp8_fp8 v[100:103], a[130:131], a[106:107], v[100:103]// 000000007A7C: D3F30064 1D92D582
	v_mfma_f32_16x16x32_fp8_fp8 v[100:103], a[132:133], a[108:109], v[100:103]// 000000007A84: D3F30064 1D92D984
	buffer_load_dword v67, s[20:23], 0 offen lds               // 000000007A8C: E0511000 80050043
	s_add_u32 m0, 0x800, s49                                   // 000000007A94: 807C31FF 00000800
	v_mfma_f32_16x16x32_fp8_fp8 v[100:103], a[134:135], a[110:111], v[100:103]// 000000007A9C: D3F30064 1D92DD86
	v_mfma_f32_16x16x32_fp8_fp8 v[104:107], a[128:129], a[112:113], v[104:107]// 000000007AA4: D3F30068 1DA2E180
	v_mfma_f32_16x16x32_fp8_fp8 v[104:107], a[130:131], a[114:115], v[104:107]// 000000007AAC: D3F30068 1DA2E582
	v_mfma_f32_16x16x32_fp8_fp8 v[104:107], a[132:133], a[116:117], v[104:107]// 000000007AB4: D3F30068 1DA2E984
	v_mfma_f32_16x16x32_fp8_fp8 v[104:107], a[134:135], a[118:119], v[104:107]// 000000007ABC: D3F30068 1DA2ED86
	v_mfma_f32_16x16x32_fp8_fp8 v[108:111], a[128:129], a[120:121], v[108:111]// 000000007AC4: D3F3006C 1DB2F180
	buffer_load_dword v68, s[20:23], 0 offen lds               // 000000007ACC: E0511000 80050044
	s_add_u32 m0, 0x900, s49                                   // 000000007AD4: 807C31FF 00000900
	v_mfma_f32_16x16x32_fp8_fp8 v[108:111], a[130:131], a[122:123], v[108:111]// 000000007ADC: D3F3006C 1DB2F582
	s_add_u32 s60, 0x80, s80                                   // 000000007AE4: 803C50FF 00000080
	s_cmp_lt_u32 s60, s81                                      // 000000007AEC: BF0A513C
	s_cselect_b32 s83, s83, 0                                  // 000000007AF0: 85538053
	v_mfma_f32_16x16x32_fp8_fp8 v[108:111], a[132:133], a[124:125], v[108:111]// 000000007AF4: D3F3006C 1DB2F984
	buffer_load_dword v69, s[20:23], 0 offen lds               // 000000007AFC: E0511000 80050045
	s_add_u32 m0, 0xa00, s49                                   // 000000007B04: 807C31FF 00000A00
	v_mfma_f32_16x16x32_fp8_fp8 v[108:111], a[134:135], a[126:127], v[108:111]// 000000007B0C: D3F3006C 1DB2FD86
	buffer_load_dword v70, s[20:23], 0 offen lds               // 000000007B14: E0511000 80050046
	s_add_u32 m0, 0xb00, s49                                   // 000000007B1C: 807C31FF 00000B00
	buffer_load_dword v71, s[20:23], 0 offen lds               // 000000007B24: E0511000 80050047
	s_add_u32 m0, 0xc00, s49                                   // 000000007B2C: 807C31FF 00000C00
	buffer_load_dword v72, s[20:23], 0 offen lds               // 000000007B34: E0511000 80050048
	s_add_u32 m0, 0xd00, s49                                   // 000000007B3C: 807C31FF 00000D00
	buffer_load_dword v73, s[20:23], 0 offen lds               // 000000007B44: E0511000 80050049
	s_add_u32 m0, 0xe00, s49                                   // 000000007B4C: 807C31FF 00000E00
	buffer_load_dword v74, s[20:23], 0 offen lds               // 000000007B54: E0511000 8005004A
	s_add_u32 m0, 0xf00, s49                                   // 000000007B5C: 807C31FF 00000F00
	buffer_load_dword v75, s[20:23], 0 offen lds               // 000000007B64: E0511000 8005004B
	s_add_u32 m0, 0, s48                                       // 000000007B6C: 807C3080
	s_waitcnt vmcnt(16)                                        // 000000007B70: BF8C4F70
	v_mfma_f32_16x16x32_fp8_fp8 v[112:115], a[136:137], a[64:65], v[112:115]// 000000007B74: D3F30070 1DC28188
	buffer_load_dwordx4 a[128:131], v76, s[24:27], 0 offen     // 000000007B7C: E05C1000 8086804C
	v_mfma_f32_16x16x32_fp8_fp8 v[112:115], a[138:139], a[66:67], v[112:115]// 000000007B84: D3F30070 1DC2858A
	v_mfma_f32_16x16x32_fp8_fp8 v[112:115], a[140:141], a[68:69], v[112:115]// 000000007B8C: D3F30070 1DC2898C
	ds_read_b128 a[0:3], v2                                    // 000000007B94: DBFE0000 00000002
	ds_read_b128 a[4:7], v2 offset:64                          // 000000007B9C: DBFE0040 04000002
	v_mfma_f32_16x16x32_fp8_fp8 v[112:115], a[142:143], a[70:71], v[112:115]// 000000007BA4: D3F30070 1DC28D8E
	v_mfma_f32_16x16x32_fp8_fp8 v[116:119], a[136:137], a[72:73], v[116:119]// 000000007BAC: D3F30074 1DD29188
	buffer_load_dwordx4 a[132:135], v76, s[24:27], 0 offen offset:1024// 000000007BB4: E05C1400 8086844C
	v_mfma_f32_16x16x32_fp8_fp8 v[116:119], a[138:139], a[74:75], v[116:119]// 000000007BBC: D3F30074 1DD2958A
	v_mfma_f32_16x16x32_fp8_fp8 v[116:119], a[140:141], a[76:77], v[116:119]// 000000007BC4: D3F30074 1DD2998C
	ds_read_b128 a[8:11], v2 offset:512                        // 000000007BCC: DBFE0200 08000002
	ds_read_b128 a[12:15], v2 offset:576                       // 000000007BD4: DBFE0240 0C000002
	v_mfma_f32_16x16x32_fp8_fp8 v[116:119], a[142:143], a[78:79], v[116:119]// 000000007BDC: D3F30074 1DD29D8E
	v_mfma_f32_16x16x32_fp8_fp8 v[120:123], a[136:137], a[80:81], v[120:123]// 000000007BE4: D3F30078 1DE2A188
	v_mfma_f32_16x16x32_fp8_fp8 v[120:123], a[138:139], a[82:83], v[120:123]// 000000007BEC: D3F30078 1DE2A58A
	v_mfma_f32_16x16x32_fp8_fp8 v[120:123], a[140:141], a[84:85], v[120:123]// 000000007BF4: D3F30078 1DE2A98C
	ds_read_b128 a[16:19], v2 offset:1024                      // 000000007BFC: DBFE0400 10000002
	ds_read_b128 a[20:23], v2 offset:1088                      // 000000007C04: DBFE0440 14000002
	v_mfma_f32_16x16x32_fp8_fp8 v[120:123], a[142:143], a[86:87], v[120:123]// 000000007C0C: D3F30078 1DE2AD8E
	v_mfma_f32_16x16x32_fp8_fp8 v[124:127], a[136:137], a[88:89], v[124:127]// 000000007C14: D3F3007C 1DF2B188
	v_mfma_f32_16x16x32_fp8_fp8 v[124:127], a[138:139], a[90:91], v[124:127]// 000000007C1C: D3F3007C 1DF2B58A
	v_mfma_f32_16x16x32_fp8_fp8 v[124:127], a[140:141], a[92:93], v[124:127]// 000000007C24: D3F3007C 1DF2B98C
	ds_read_b128 a[24:27], v2 offset:1536                      // 000000007C2C: DBFE0600 18000002
	ds_read_b128 a[28:31], v2 offset:1600                      // 000000007C34: DBFE0640 1C000002
	v_mfma_f32_16x16x32_fp8_fp8 v[124:127], a[142:143], a[94:95], v[124:127]// 000000007C3C: D3F3007C 1DF2BD8E
	v_mfma_f32_16x16x32_fp8_fp8 v[128:131], a[136:137], a[96:97], v[128:131]// 000000007C44: D3F30080 1E02C188
	v_mfma_f32_16x16x32_fp8_fp8 v[128:131], a[138:139], a[98:99], v[128:131]// 000000007C4C: D3F30080 1E02C58A
	v_mfma_f32_16x16x32_fp8_fp8 v[128:131], a[140:141], a[100:101], v[128:131]// 000000007C54: D3F30080 1E02C98C
	ds_read_b128 a[32:35], v2 offset:2048                      // 000000007C5C: DBFE0800 20000002
	ds_read_b128 a[36:39], v2 offset:2112                      // 000000007C64: DBFE0840 24000002
	v_mfma_f32_16x16x32_fp8_fp8 v[128:131], a[142:143], a[102:103], v[128:131]// 000000007C6C: D3F30080 1E02CD8E
	v_mfma_f32_16x16x32_fp8_fp8 v[132:135], a[136:137], a[104:105], v[132:135]// 000000007C74: D3F30084 1E12D188
	v_mfma_f32_16x16x32_fp8_fp8 v[132:135], a[138:139], a[106:107], v[132:135]// 000000007C7C: D3F30084 1E12D58A
	v_mfma_f32_16x16x32_fp8_fp8 v[132:135], a[140:141], a[108:109], v[132:135]// 000000007C84: D3F30084 1E12D98C
	ds_read_b128 a[40:43], v2 offset:2560                      // 000000007C8C: DBFE0A00 28000002
	ds_read_b128 a[44:47], v2 offset:2624                      // 000000007C94: DBFE0A40 2C000002
	v_mfma_f32_16x16x32_fp8_fp8 v[132:135], a[142:143], a[110:111], v[132:135]// 000000007C9C: D3F30084 1E12DD8E
	v_mfma_f32_16x16x32_fp8_fp8 v[136:139], a[136:137], a[112:113], v[136:139]// 000000007CA4: D3F30088 1E22E188
	v_mfma_f32_16x16x32_fp8_fp8 v[136:139], a[138:139], a[114:115], v[136:139]// 000000007CAC: D3F30088 1E22E58A
	v_mfma_f32_16x16x32_fp8_fp8 v[136:139], a[140:141], a[116:117], v[136:139]// 000000007CB4: D3F30088 1E22E98C
	ds_read_b128 a[48:51], v2 offset:3072                      // 000000007CBC: DBFE0C00 30000002
	ds_read_b128 a[52:55], v2 offset:3136                      // 000000007CC4: DBFE0C40 34000002
	s_add_u32 s60, 0x180, s80                                  // 000000007CCC: 803C50FF 00000180
	s_cmp_lt_u32 s60, s81                                      // 000000007CD4: BF0A513C
	s_cselect_b32 s57, s57, 0                                  // 000000007CD8: 85398039
	v_mfma_f32_16x16x32_fp8_fp8 v[136:139], a[142:143], a[118:119], v[136:139]// 000000007CDC: D3F30088 1E22ED8E
	s_add_u32 s60, 0x100, s80                                  // 000000007CE4: 803C50FF 00000100
	s_cmp_lt_u32 s60, s81                                      // 000000007CEC: BF0A513C
	s_cselect_b32 s58, s58, 0                                  // 000000007CF0: 853A803A
	v_mfma_f32_16x16x32_fp8_fp8 v[140:143], a[136:137], a[120:121], v[140:143]// 000000007CF4: D3F3008C 1E32F188
	s_add_u32 s24, s58, s24                                    // 000000007CFC: 8018183A
	s_addc_u32 s25, 0, s25                                     // 000000007D00: 82191980
	v_mfma_f32_16x16x32_fp8_fp8 v[140:143], a[138:139], a[122:123], v[140:143]// 000000007D04: D3F3008C 1E32F58A
	s_add_u32 s20, s57, s20                                    // 000000007D0C: 80141439
	s_addc_u32 s21, 0, s21                                     // 000000007D10: 82151580
	v_mfma_f32_16x16x32_fp8_fp8 v[140:143], a[140:141], a[124:125], v[140:143]// 000000007D14: D3F3008C 1E32F98C
	ds_read_b128 a[56:59], v2 offset:3584                      // 000000007D1C: DBFE0E00 38000002
	ds_read_b128 a[60:63], v2 offset:3648                      // 000000007D24: DBFE0E40 3C000002
	s_add_u32 s84, s83, s84                                    // 000000007D2C: 80545453
	s_addc_u32 s85, 0, s85                                     // 000000007D30: 82555580
	v_mfma_f32_16x16x32_fp8_fp8 v[140:143], a[142:143], a[126:127], v[140:143]// 000000007D34: D3F3008C 1E32FD8E
	s_addk_i32 s80, 0x80                                       // 000000007D3C: B7500080
	s_cmp_lt_i32 s80, s81                                      // 000000007D40: BF045150
	s_cbranch_scc0 label_14D6                                  // 000000007D44: BF840001
	s_branch label_12D7                                        // 000000007D48: BF82FE01

0000000000007d4c <label_14D6>:
	v_mul_f32_dpp v80, v24, v80 row_newbcast:0 row_mask:0xf bank_mask:0xf// 000000007D4C: 0AA0A0FA FF015018
	v_mul_f32_dpp v81, v24, v81 row_newbcast:1 row_mask:0xf bank_mask:0xf// 000000007D54: 0AA2A2FA FF015118
	v_mul_f32_dpp v82, v24, v82 row_newbcast:2 row_mask:0xf bank_mask:0xf// 000000007D5C: 0AA4A4FA FF015218
	v_mul_f32_dpp v83, v24, v83 row_newbcast:3 row_mask:0xf bank_mask:0xf// 000000007D64: 0AA6A6FA FF015318
	v_mul_f32_dpp v84, v24, v84 row_newbcast:0 row_mask:0xf bank_mask:0xf// 000000007D6C: 0AA8A8FA FF015018
	v_mul_f32_dpp v85, v24, v85 row_newbcast:1 row_mask:0xf bank_mask:0xf// 000000007D74: 0AAAAAFA FF015118
	v_mul_f32_dpp v86, v24, v86 row_newbcast:2 row_mask:0xf bank_mask:0xf// 000000007D7C: 0AACACFA FF015218
	v_mul_f32_dpp v87, v24, v87 row_newbcast:3 row_mask:0xf bank_mask:0xf// 000000007D84: 0AAEAEFA FF015318
	v_mul_f32_dpp v88, v24, v88 row_newbcast:0 row_mask:0xf bank_mask:0xf// 000000007D8C: 0AB0B0FA FF015018
	v_mul_f32_dpp v89, v24, v89 row_newbcast:1 row_mask:0xf bank_mask:0xf// 000000007D94: 0AB2B2FA FF015118
	v_mul_f32_dpp v90, v24, v90 row_newbcast:2 row_mask:0xf bank_mask:0xf// 000000007D9C: 0AB4B4FA FF015218
	v_mul_f32_dpp v91, v24, v91 row_newbcast:3 row_mask:0xf bank_mask:0xf// 000000007DA4: 0AB6B6FA FF015318
	v_mul_f32_dpp v92, v24, v92 row_newbcast:0 row_mask:0xf bank_mask:0xf// 000000007DAC: 0AB8B8FA FF015018
	v_mul_f32_dpp v93, v24, v93 row_newbcast:1 row_mask:0xf bank_mask:0xf// 000000007DB4: 0ABABAFA FF015118
	v_mul_f32_dpp v94, v24, v94 row_newbcast:2 row_mask:0xf bank_mask:0xf// 000000007DBC: 0ABCBCFA FF015218
	v_mul_f32_dpp v95, v24, v95 row_newbcast:3 row_mask:0xf bank_mask:0xf// 000000007DC4: 0ABEBEFA FF015318
	v_mul_f32_dpp v96, v24, v96 row_newbcast:0 row_mask:0xf bank_mask:0xf// 000000007DCC: 0AC0C0FA FF015018
	v_mul_f32_dpp v97, v24, v97 row_newbcast:1 row_mask:0xf bank_mask:0xf// 000000007DD4: 0AC2C2FA FF015118
	v_mul_f32_dpp v98, v24, v98 row_newbcast:2 row_mask:0xf bank_mask:0xf// 000000007DDC: 0AC4C4FA FF015218
	v_mul_f32_dpp v99, v24, v99 row_newbcast:3 row_mask:0xf bank_mask:0xf// 000000007DE4: 0AC6C6FA FF015318
	v_mul_f32_dpp v100, v24, v100 row_newbcast:0 row_mask:0xf bank_mask:0xf// 000000007DEC: 0AC8C8FA FF015018
	v_mul_f32_dpp v101, v24, v101 row_newbcast:1 row_mask:0xf bank_mask:0xf// 000000007DF4: 0ACACAFA FF015118
	v_mul_f32_dpp v102, v24, v102 row_newbcast:2 row_mask:0xf bank_mask:0xf// 000000007DFC: 0ACCCCFA FF015218
	v_mul_f32_dpp v103, v24, v103 row_newbcast:3 row_mask:0xf bank_mask:0xf// 000000007E04: 0ACECEFA FF015318
	v_mul_f32_dpp v104, v24, v104 row_newbcast:0 row_mask:0xf bank_mask:0xf// 000000007E0C: 0AD0D0FA FF015018
	v_mul_f32_dpp v105, v24, v105 row_newbcast:1 row_mask:0xf bank_mask:0xf// 000000007E14: 0AD2D2FA FF015118
	v_mul_f32_dpp v106, v24, v106 row_newbcast:2 row_mask:0xf bank_mask:0xf// 000000007E1C: 0AD4D4FA FF015218
	v_mul_f32_dpp v107, v24, v107 row_newbcast:3 row_mask:0xf bank_mask:0xf// 000000007E24: 0AD6D6FA FF015318
	v_mul_f32_dpp v108, v24, v108 row_newbcast:0 row_mask:0xf bank_mask:0xf// 000000007E2C: 0AD8D8FA FF015018
	v_mul_f32_dpp v109, v24, v109 row_newbcast:1 row_mask:0xf bank_mask:0xf// 000000007E34: 0ADADAFA FF015118
	v_mul_f32_dpp v110, v24, v110 row_newbcast:2 row_mask:0xf bank_mask:0xf// 000000007E3C: 0ADCDCFA FF015218
	v_mul_f32_dpp v111, v24, v111 row_newbcast:3 row_mask:0xf bank_mask:0xf// 000000007E44: 0ADEDEFA FF015318
	v_mul_f32_dpp v112, v26, v112 row_newbcast:0 row_mask:0xf bank_mask:0xf// 000000007E4C: 0AE0E0FA FF01501A
	v_mul_f32_dpp v113, v26, v113 row_newbcast:1 row_mask:0xf bank_mask:0xf// 000000007E54: 0AE2E2FA FF01511A
	v_mul_f32_dpp v114, v26, v114 row_newbcast:2 row_mask:0xf bank_mask:0xf// 000000007E5C: 0AE4E4FA FF01521A
	v_mul_f32_dpp v115, v26, v115 row_newbcast:3 row_mask:0xf bank_mask:0xf// 000000007E64: 0AE6E6FA FF01531A
	v_mul_f32_dpp v116, v26, v116 row_newbcast:0 row_mask:0xf bank_mask:0xf// 000000007E6C: 0AE8E8FA FF01501A
	v_mul_f32_dpp v117, v26, v117 row_newbcast:1 row_mask:0xf bank_mask:0xf// 000000007E74: 0AEAEAFA FF01511A
	v_mul_f32_dpp v118, v26, v118 row_newbcast:2 row_mask:0xf bank_mask:0xf// 000000007E7C: 0AECECFA FF01521A
	v_mul_f32_dpp v119, v26, v119 row_newbcast:3 row_mask:0xf bank_mask:0xf// 000000007E84: 0AEEEEFA FF01531A
	v_mul_f32_dpp v120, v26, v120 row_newbcast:0 row_mask:0xf bank_mask:0xf// 000000007E8C: 0AF0F0FA FF01501A
	v_mul_f32_dpp v121, v26, v121 row_newbcast:1 row_mask:0xf bank_mask:0xf// 000000007E94: 0AF2F2FA FF01511A
	v_mul_f32_dpp v122, v26, v122 row_newbcast:2 row_mask:0xf bank_mask:0xf// 000000007E9C: 0AF4F4FA FF01521A
	v_mul_f32_dpp v123, v26, v123 row_newbcast:3 row_mask:0xf bank_mask:0xf// 000000007EA4: 0AF6F6FA FF01531A
	v_mul_f32_dpp v124, v26, v124 row_newbcast:0 row_mask:0xf bank_mask:0xf// 000000007EAC: 0AF8F8FA FF01501A
	v_mul_f32_dpp v125, v26, v125 row_newbcast:1 row_mask:0xf bank_mask:0xf// 000000007EB4: 0AFAFAFA FF01511A
	v_mul_f32_dpp v126, v26, v126 row_newbcast:2 row_mask:0xf bank_mask:0xf// 000000007EBC: 0AFCFCFA FF01521A
	v_mul_f32_dpp v127, v26, v127 row_newbcast:3 row_mask:0xf bank_mask:0xf// 000000007EC4: 0AFEFEFA FF01531A
	v_mul_f32_dpp v128, v26, v128 row_newbcast:0 row_mask:0xf bank_mask:0xf// 000000007ECC: 0B0100FA FF01501A
	v_mul_f32_dpp v129, v26, v129 row_newbcast:1 row_mask:0xf bank_mask:0xf// 000000007ED4: 0B0302FA FF01511A
	v_mul_f32_dpp v130, v26, v130 row_newbcast:2 row_mask:0xf bank_mask:0xf// 000000007EDC: 0B0504FA FF01521A
	v_mul_f32_dpp v131, v26, v131 row_newbcast:3 row_mask:0xf bank_mask:0xf// 000000007EE4: 0B0706FA FF01531A
	v_mul_f32_dpp v132, v26, v132 row_newbcast:0 row_mask:0xf bank_mask:0xf// 000000007EEC: 0B0908FA FF01501A
	v_mul_f32_dpp v133, v26, v133 row_newbcast:1 row_mask:0xf bank_mask:0xf// 000000007EF4: 0B0B0AFA FF01511A
	v_mul_f32_dpp v134, v26, v134 row_newbcast:2 row_mask:0xf bank_mask:0xf// 000000007EFC: 0B0D0CFA FF01521A
	v_mul_f32_dpp v135, v26, v135 row_newbcast:3 row_mask:0xf bank_mask:0xf// 000000007F04: 0B0F0EFA FF01531A
	v_mul_f32_dpp v136, v26, v136 row_newbcast:0 row_mask:0xf bank_mask:0xf// 000000007F0C: 0B1110FA FF01501A
	v_mul_f32_dpp v137, v26, v137 row_newbcast:1 row_mask:0xf bank_mask:0xf// 000000007F14: 0B1312FA FF01511A
	v_mul_f32_dpp v138, v26, v138 row_newbcast:2 row_mask:0xf bank_mask:0xf// 000000007F1C: 0B1514FA FF01521A
	v_mul_f32_dpp v139, v26, v139 row_newbcast:3 row_mask:0xf bank_mask:0xf// 000000007F24: 0B1716FA FF01531A
	v_mul_f32_dpp v140, v26, v140 row_newbcast:0 row_mask:0xf bank_mask:0xf// 000000007F2C: 0B1918FA FF01501A
	v_mul_f32_dpp v141, v26, v141 row_newbcast:1 row_mask:0xf bank_mask:0xf// 000000007F34: 0B1B1AFA FF01511A
	v_mul_f32_dpp v142, v26, v142 row_newbcast:2 row_mask:0xf bank_mask:0xf// 000000007F3C: 0B1D1CFA FF01521A
	v_mul_f32_dpp v143, v26, v143 row_newbcast:3 row_mask:0xf bank_mask:0xf// 000000007F44: 0B1F1EFA FF01531A
	v_mov_b32_e32 v4, v36                                      // 000000007F4C: 7E080324
	v_mov_b32_e32 v5, v4                                       // 000000007F50: 7E0A0304
	v_pk_mul_f32 v[80:81], v[4:5], v[80:81]                    // 000000007F54: D3B14050 1802A104
	v_pk_mul_f32 v[112:113], v[4:5], v[112:113]                // 000000007F5C: D3B14070 1802E104
	v_pk_mul_f32 v[82:83], v[4:5], v[82:83]                    // 000000007F64: D3B14052 1802A504
	v_pk_mul_f32 v[114:115], v[4:5], v[114:115]                // 000000007F6C: D3B14072 1802E504
	v_mov_b32_e32 v4, v37                                      // 000000007F74: 7E080325
	v_mov_b32_e32 v5, v4                                       // 000000007F78: 7E0A0304
	v_pk_mul_f32 v[84:85], v[4:5], v[84:85]                    // 000000007F7C: D3B14054 1802A904
	v_pk_mul_f32 v[116:117], v[4:5], v[116:117]                // 000000007F84: D3B14074 1802E904
	v_pk_mul_f32 v[86:87], v[4:5], v[86:87]                    // 000000007F8C: D3B14056 1802AD04
	v_pk_mul_f32 v[118:119], v[4:5], v[118:119]                // 000000007F94: D3B14076 1802ED04
	v_mov_b32_e32 v4, v38                                      // 000000007F9C: 7E080326
	v_mov_b32_e32 v5, v4                                       // 000000007FA0: 7E0A0304
	v_pk_mul_f32 v[88:89], v[4:5], v[88:89]                    // 000000007FA4: D3B14058 1802B104
	v_pk_mul_f32 v[120:121], v[4:5], v[120:121]                // 000000007FAC: D3B14078 1802F104
	v_pk_mul_f32 v[90:91], v[4:5], v[90:91]                    // 000000007FB4: D3B1405A 1802B504
	v_pk_mul_f32 v[122:123], v[4:5], v[122:123]                // 000000007FBC: D3B1407A 1802F504
	v_mov_b32_e32 v4, v39                                      // 000000007FC4: 7E080327
	v_mov_b32_e32 v5, v4                                       // 000000007FC8: 7E0A0304
	v_pk_mul_f32 v[92:93], v[4:5], v[92:93]                    // 000000007FCC: D3B1405C 1802B904
	v_pk_mul_f32 v[124:125], v[4:5], v[124:125]                // 000000007FD4: D3B1407C 1802F904
	v_pk_mul_f32 v[94:95], v[4:5], v[94:95]                    // 000000007FDC: D3B1405E 1802BD04
	v_pk_mul_f32 v[126:127], v[4:5], v[126:127]                // 000000007FE4: D3B1407E 1802FD04
	v_mov_b32_e32 v4, v40                                      // 000000007FEC: 7E080328
	v_mov_b32_e32 v5, v4                                       // 000000007FF0: 7E0A0304
	v_pk_mul_f32 v[96:97], v[4:5], v[96:97]                    // 000000007FF4: D3B14060 1802C104
	v_pk_mul_f32 v[128:129], v[4:5], v[128:129]                // 000000007FFC: D3B14080 18030104
	v_pk_mul_f32 v[98:99], v[4:5], v[98:99]                    // 000000008004: D3B14062 1802C504
	v_pk_mul_f32 v[130:131], v[4:5], v[130:131]                // 00000000800C: D3B14082 18030504
	v_mov_b32_e32 v4, v41                                      // 000000008014: 7E080329
	v_mov_b32_e32 v5, v4                                       // 000000008018: 7E0A0304
	v_pk_mul_f32 v[100:101], v[4:5], v[100:101]                // 00000000801C: D3B14064 1802C904
	v_pk_mul_f32 v[132:133], v[4:5], v[132:133]                // 000000008024: D3B14084 18030904
	v_pk_mul_f32 v[102:103], v[4:5], v[102:103]                // 00000000802C: D3B14066 1802CD04
	v_pk_mul_f32 v[134:135], v[4:5], v[134:135]                // 000000008034: D3B14086 18030D04
	v_mov_b32_e32 v4, v42                                      // 00000000803C: 7E08032A
	v_mov_b32_e32 v5, v4                                       // 000000008040: 7E0A0304
	v_pk_mul_f32 v[104:105], v[4:5], v[104:105]                // 000000008044: D3B14068 1802D104
	v_pk_mul_f32 v[136:137], v[4:5], v[136:137]                // 00000000804C: D3B14088 18031104
	v_pk_mul_f32 v[106:107], v[4:5], v[106:107]                // 000000008054: D3B1406A 1802D504
	v_pk_mul_f32 v[138:139], v[4:5], v[138:139]                // 00000000805C: D3B1408A 18031504
	v_mov_b32_e32 v4, v43                                      // 000000008064: 7E08032B
	v_mov_b32_e32 v5, v4                                       // 000000008068: 7E0A0304
	v_pk_mul_f32 v[108:109], v[4:5], v[108:109]                // 00000000806C: D3B1406C 1802D904
	v_pk_mul_f32 v[140:141], v[4:5], v[140:141]                // 000000008074: D3B1408C 18031904
	v_pk_mul_f32 v[110:111], v[4:5], v[110:111]                // 00000000807C: D3B1406E 1802DD04
	v_pk_mul_f32 v[142:143], v[4:5], v[142:143]                // 000000008084: D3B1408E 18031D04
	s_cmp_eq_u32 s88, 0                                        // 00000000808C: BF068058
	s_cbranch_scc0 label_1B99                                  // 000000008090: BF8405F1
	s_cmp_eq_u32 s89, 0                                        // 000000008094: BF068059
	s_cbranch_scc1 label_16EF                                  // 000000008098: BF850145
	v_mov_b32_e32 v8, v1                                       // 00000000809C: 7E100301
	v_mov_b32_e32 v9, v1                                       // 0000000080A0: 7E120301
	s_mov_b32 s60, s6                                          // 0000000080A4: BEBC0006
	s_mov_b32 s61, s6                                          // 0000000080A8: BEBD0006
	v_pk_mul_f32 v[4:5], v[80:81], v[80:81]                    // 0000000080AC: D3B14004 1802A150
	v_pk_mul_f32 v[6:7], v[82:83], v[82:83]                    // 0000000080B4: D3B14006 1802A552
	v_pk_fma_f32 v[4:5], v[4:5], s[78:79], v[8:9]              // 0000000080BC: D3B04004 1C209D04
	v_pk_fma_f32 v[6:7], v[6:7], s[78:79], v[8:9]              // 0000000080C4: D3B04006 1C209D06
	v_pk_mul_f32 v[4:5], v[4:5], v[80:81]                      // 0000000080CC: D3B14004 1802A104
	v_pk_mul_f32 v[6:7], v[6:7], v[82:83]                      // 0000000080D4: D3B14006 1802A506
	v_pk_mul_f32 v[4:5], v[4:5], s[60:61]                      // 0000000080DC: D3B14004 18007904
	v_pk_mul_f32 v[6:7], v[6:7], s[60:61]                      // 0000000080E4: D3B14006 18007906
	v_exp_f32_e32 v4, v4                                       // 0000000080EC: 7E084104
	v_exp_f32_e32 v5, v5                                       // 0000000080F0: 7E0A4105
	v_exp_f32_e32 v6, v6                                       // 0000000080F4: 7E0C4106
	v_exp_f32_e32 v7, v7                                       // 0000000080F8: 7E0E4107
	v_add_f32_e64 v4, v4, 1.0                                  // 0000000080FC: D1010004 0001E504
	v_add_f32_e64 v5, v5, 1.0                                  // 000000008104: D1010005 0001E505
	v_add_f32_e64 v6, v6, 1.0                                  // 00000000810C: D1010006 0001E506
	v_add_f32_e64 v7, v7, 1.0                                  // 000000008114: D1010007 0001E507
	v_rcp_f32_e32 v4, v4                                       // 00000000811C: 7E084504
	v_rcp_f32_e32 v5, v5                                       // 000000008120: 7E0A4505
	v_rcp_f32_e32 v6, v6                                       // 000000008124: 7E0C4506
	v_rcp_f32_e32 v7, v7                                       // 000000008128: 7E0E4507
	v_mul_f32_e32 v80, v80, v4                                 // 00000000812C: 0AA00950
	v_mul_f32_e32 v81, v81, v5                                 // 000000008130: 0AA20B51
	v_mul_f32_e32 v82, v82, v6                                 // 000000008134: 0AA40D52
	v_mul_f32_e32 v83, v83, v7                                 // 000000008138: 0AA60F53
	v_mul_f32_e32 v80, v80, v112                               // 00000000813C: 0AA0E150
	v_mul_f32_e32 v81, v81, v113                               // 000000008140: 0AA2E351
	v_mul_f32_e32 v82, v82, v114                               // 000000008144: 0AA4E552
	v_mul_f32_e32 v83, v83, v115                               // 000000008148: 0AA6E753
	v_pk_mul_f32 v[4:5], v[84:85], v[84:85]                    // 00000000814C: D3B14004 1802A954
	v_pk_mul_f32 v[6:7], v[86:87], v[86:87]                    // 000000008154: D3B14006 1802AD56
	v_pk_fma_f32 v[4:5], v[4:5], s[78:79], v[8:9]              // 00000000815C: D3B04004 1C209D04
	v_pk_fma_f32 v[6:7], v[6:7], s[78:79], v[8:9]              // 000000008164: D3B04006 1C209D06
	v_pk_mul_f32 v[4:5], v[4:5], v[84:85]                      // 00000000816C: D3B14004 1802A904
	v_pk_mul_f32 v[6:7], v[6:7], v[86:87]                      // 000000008174: D3B14006 1802AD06
	v_pk_mul_f32 v[4:5], v[4:5], s[60:61]                      // 00000000817C: D3B14004 18007904
	v_pk_mul_f32 v[6:7], v[6:7], s[60:61]                      // 000000008184: D3B14006 18007906
	v_exp_f32_e32 v4, v4                                       // 00000000818C: 7E084104
	v_exp_f32_e32 v5, v5                                       // 000000008190: 7E0A4105
	v_exp_f32_e32 v6, v6                                       // 000000008194: 7E0C4106
	v_exp_f32_e32 v7, v7                                       // 000000008198: 7E0E4107
	v_add_f32_e64 v4, v4, 1.0                                  // 00000000819C: D1010004 0001E504
	v_add_f32_e64 v5, v5, 1.0                                  // 0000000081A4: D1010005 0001E505
	v_add_f32_e64 v6, v6, 1.0                                  // 0000000081AC: D1010006 0001E506
	v_add_f32_e64 v7, v7, 1.0                                  // 0000000081B4: D1010007 0001E507
	v_rcp_f32_e32 v4, v4                                       // 0000000081BC: 7E084504
	v_rcp_f32_e32 v5, v5                                       // 0000000081C0: 7E0A4505
	v_rcp_f32_e32 v6, v6                                       // 0000000081C4: 7E0C4506
	v_rcp_f32_e32 v7, v7                                       // 0000000081C8: 7E0E4507
	v_mul_f32_e32 v84, v84, v4                                 // 0000000081CC: 0AA80954
	v_mul_f32_e32 v85, v85, v5                                 // 0000000081D0: 0AAA0B55
	v_mul_f32_e32 v86, v86, v6                                 // 0000000081D4: 0AAC0D56
	v_mul_f32_e32 v87, v87, v7                                 // 0000000081D8: 0AAE0F57
	v_mul_f32_e32 v84, v84, v116                               // 0000000081DC: 0AA8E954
	v_mul_f32_e32 v85, v85, v117                               // 0000000081E0: 0AAAEB55
	v_mul_f32_e32 v86, v86, v118                               // 0000000081E4: 0AACED56
	v_mul_f32_e32 v87, v87, v119                               // 0000000081E8: 0AAEEF57
	v_pk_mul_f32 v[4:5], v[88:89], v[88:89]                    // 0000000081EC: D3B14004 1802B158
	v_pk_mul_f32 v[6:7], v[90:91], v[90:91]                    // 0000000081F4: D3B14006 1802B55A
	v_pk_fma_f32 v[4:5], v[4:5], s[78:79], v[8:9]              // 0000000081FC: D3B04004 1C209D04
	v_pk_fma_f32 v[6:7], v[6:7], s[78:79], v[8:9]              // 000000008204: D3B04006 1C209D06
	v_pk_mul_f32 v[4:5], v[4:5], v[88:89]                      // 00000000820C: D3B14004 1802B104
	v_pk_mul_f32 v[6:7], v[6:7], v[90:91]                      // 000000008214: D3B14006 1802B506
	v_pk_mul_f32 v[4:5], v[4:5], s[60:61]                      // 00000000821C: D3B14004 18007904
	v_pk_mul_f32 v[6:7], v[6:7], s[60:61]                      // 000000008224: D3B14006 18007906
	v_exp_f32_e32 v4, v4                                       // 00000000822C: 7E084104
	v_exp_f32_e32 v5, v5                                       // 000000008230: 7E0A4105
	v_exp_f32_e32 v6, v6                                       // 000000008234: 7E0C4106
	v_exp_f32_e32 v7, v7                                       // 000000008238: 7E0E4107
	v_add_f32_e64 v4, v4, 1.0                                  // 00000000823C: D1010004 0001E504
	v_add_f32_e64 v5, v5, 1.0                                  // 000000008244: D1010005 0001E505
	v_add_f32_e64 v6, v6, 1.0                                  // 00000000824C: D1010006 0001E506
	v_add_f32_e64 v7, v7, 1.0                                  // 000000008254: D1010007 0001E507
	v_rcp_f32_e32 v4, v4                                       // 00000000825C: 7E084504
	v_rcp_f32_e32 v5, v5                                       // 000000008260: 7E0A4505
	v_rcp_f32_e32 v6, v6                                       // 000000008264: 7E0C4506
	v_rcp_f32_e32 v7, v7                                       // 000000008268: 7E0E4507
	v_mul_f32_e32 v88, v88, v4                                 // 00000000826C: 0AB00958
	v_mul_f32_e32 v89, v89, v5                                 // 000000008270: 0AB20B59
	v_mul_f32_e32 v90, v90, v6                                 // 000000008274: 0AB40D5A
	v_mul_f32_e32 v91, v91, v7                                 // 000000008278: 0AB60F5B
	v_mul_f32_e32 v88, v88, v120                               // 00000000827C: 0AB0F158
	v_mul_f32_e32 v89, v89, v121                               // 000000008280: 0AB2F359
	v_mul_f32_e32 v90, v90, v122                               // 000000008284: 0AB4F55A
	v_mul_f32_e32 v91, v91, v123                               // 000000008288: 0AB6F75B
	v_pk_mul_f32 v[4:5], v[92:93], v[92:93]                    // 00000000828C: D3B14004 1802B95C
	v_pk_mul_f32 v[6:7], v[94:95], v[94:95]                    // 000000008294: D3B14006 1802BD5E
	v_pk_fma_f32 v[4:5], v[4:5], s[78:79], v[8:9]              // 00000000829C: D3B04004 1C209D04
	v_pk_fma_f32 v[6:7], v[6:7], s[78:79], v[8:9]              // 0000000082A4: D3B04006 1C209D06
	v_pk_mul_f32 v[4:5], v[4:5], v[92:93]                      // 0000000082AC: D3B14004 1802B904
	v_pk_mul_f32 v[6:7], v[6:7], v[94:95]                      // 0000000082B4: D3B14006 1802BD06
	v_pk_mul_f32 v[4:5], v[4:5], s[60:61]                      // 0000000082BC: D3B14004 18007904
	v_pk_mul_f32 v[6:7], v[6:7], s[60:61]                      // 0000000082C4: D3B14006 18007906
	v_exp_f32_e32 v4, v4                                       // 0000000082CC: 7E084104
	v_exp_f32_e32 v5, v5                                       // 0000000082D0: 7E0A4105
	v_exp_f32_e32 v6, v6                                       // 0000000082D4: 7E0C4106
	v_exp_f32_e32 v7, v7                                       // 0000000082D8: 7E0E4107
	v_add_f32_e64 v4, v4, 1.0                                  // 0000000082DC: D1010004 0001E504
	v_add_f32_e64 v5, v5, 1.0                                  // 0000000082E4: D1010005 0001E505
	v_add_f32_e64 v6, v6, 1.0                                  // 0000000082EC: D1010006 0001E506
	v_add_f32_e64 v7, v7, 1.0                                  // 0000000082F4: D1010007 0001E507
	v_rcp_f32_e32 v4, v4                                       // 0000000082FC: 7E084504
	v_rcp_f32_e32 v5, v5                                       // 000000008300: 7E0A4505
	v_rcp_f32_e32 v6, v6                                       // 000000008304: 7E0C4506
	v_rcp_f32_e32 v7, v7                                       // 000000008308: 7E0E4507
	v_mul_f32_e32 v92, v92, v4                                 // 00000000830C: 0AB8095C
	v_mul_f32_e32 v93, v93, v5                                 // 000000008310: 0ABA0B5D
	v_mul_f32_e32 v94, v94, v6                                 // 000000008314: 0ABC0D5E
	v_mul_f32_e32 v95, v95, v7                                 // 000000008318: 0ABE0F5F
	v_mul_f32_e32 v92, v92, v124                               // 00000000831C: 0AB8F95C
	v_mul_f32_e32 v93, v93, v125                               // 000000008320: 0ABAFB5D
	v_mul_f32_e32 v94, v94, v126                               // 000000008324: 0ABCFD5E
	v_mul_f32_e32 v95, v95, v127                               // 000000008328: 0ABEFF5F
	v_pk_mul_f32 v[4:5], v[96:97], v[96:97]                    // 00000000832C: D3B14004 1802C160
	v_pk_mul_f32 v[6:7], v[98:99], v[98:99]                    // 000000008334: D3B14006 1802C562
	v_pk_fma_f32 v[4:5], v[4:5], s[78:79], v[8:9]              // 00000000833C: D3B04004 1C209D04
	v_pk_fma_f32 v[6:7], v[6:7], s[78:79], v[8:9]              // 000000008344: D3B04006 1C209D06
	v_pk_mul_f32 v[4:5], v[4:5], v[96:97]                      // 00000000834C: D3B14004 1802C104
	v_pk_mul_f32 v[6:7], v[6:7], v[98:99]                      // 000000008354: D3B14006 1802C506
	v_pk_mul_f32 v[4:5], v[4:5], s[60:61]                      // 00000000835C: D3B14004 18007904
	v_pk_mul_f32 v[6:7], v[6:7], s[60:61]                      // 000000008364: D3B14006 18007906
	v_exp_f32_e32 v4, v4                                       // 00000000836C: 7E084104
	v_exp_f32_e32 v5, v5                                       // 000000008370: 7E0A4105
	v_exp_f32_e32 v6, v6                                       // 000000008374: 7E0C4106
	v_exp_f32_e32 v7, v7                                       // 000000008378: 7E0E4107
	v_add_f32_e64 v4, v4, 1.0                                  // 00000000837C: D1010004 0001E504
	v_add_f32_e64 v5, v5, 1.0                                  // 000000008384: D1010005 0001E505
	v_add_f32_e64 v6, v6, 1.0                                  // 00000000838C: D1010006 0001E506
	v_add_f32_e64 v7, v7, 1.0                                  // 000000008394: D1010007 0001E507
	v_rcp_f32_e32 v4, v4                                       // 00000000839C: 7E084504
	v_rcp_f32_e32 v5, v5                                       // 0000000083A0: 7E0A4505
	v_rcp_f32_e32 v6, v6                                       // 0000000083A4: 7E0C4506
	v_rcp_f32_e32 v7, v7                                       // 0000000083A8: 7E0E4507
	v_mul_f32_e32 v96, v96, v4                                 // 0000000083AC: 0AC00960
	v_mul_f32_e32 v97, v97, v5                                 // 0000000083B0: 0AC20B61
	v_mul_f32_e32 v98, v98, v6                                 // 0000000083B4: 0AC40D62
	v_mul_f32_e32 v99, v99, v7                                 // 0000000083B8: 0AC60F63
	v_mul_f32_e32 v96, v96, v128                               // 0000000083BC: 0AC10160
	v_mul_f32_e32 v97, v97, v129                               // 0000000083C0: 0AC30361
	v_mul_f32_e32 v98, v98, v130                               // 0000000083C4: 0AC50562
	v_mul_f32_e32 v99, v99, v131                               // 0000000083C8: 0AC70763
	v_pk_mul_f32 v[4:5], v[100:101], v[100:101]                // 0000000083CC: D3B14004 1802C964
	v_pk_mul_f32 v[6:7], v[102:103], v[102:103]                // 0000000083D4: D3B14006 1802CD66
	v_pk_fma_f32 v[4:5], v[4:5], s[78:79], v[8:9]              // 0000000083DC: D3B04004 1C209D04
	v_pk_fma_f32 v[6:7], v[6:7], s[78:79], v[8:9]              // 0000000083E4: D3B04006 1C209D06
	v_pk_mul_f32 v[4:5], v[4:5], v[100:101]                    // 0000000083EC: D3B14004 1802C904
	v_pk_mul_f32 v[6:7], v[6:7], v[102:103]                    // 0000000083F4: D3B14006 1802CD06
	v_pk_mul_f32 v[4:5], v[4:5], s[60:61]                      // 0000000083FC: D3B14004 18007904
	v_pk_mul_f32 v[6:7], v[6:7], s[60:61]                      // 000000008404: D3B14006 18007906
	v_exp_f32_e32 v4, v4                                       // 00000000840C: 7E084104
	v_exp_f32_e32 v5, v5                                       // 000000008410: 7E0A4105
	v_exp_f32_e32 v6, v6                                       // 000000008414: 7E0C4106
	v_exp_f32_e32 v7, v7                                       // 000000008418: 7E0E4107
	v_add_f32_e64 v4, v4, 1.0                                  // 00000000841C: D1010004 0001E504
	v_add_f32_e64 v5, v5, 1.0                                  // 000000008424: D1010005 0001E505
	v_add_f32_e64 v6, v6, 1.0                                  // 00000000842C: D1010006 0001E506
	v_add_f32_e64 v7, v7, 1.0                                  // 000000008434: D1010007 0001E507
	v_rcp_f32_e32 v4, v4                                       // 00000000843C: 7E084504
	v_rcp_f32_e32 v5, v5                                       // 000000008440: 7E0A4505
	v_rcp_f32_e32 v6, v6                                       // 000000008444: 7E0C4506
	v_rcp_f32_e32 v7, v7                                       // 000000008448: 7E0E4507
	v_mul_f32_e32 v100, v100, v4                               // 00000000844C: 0AC80964
	v_mul_f32_e32 v101, v101, v5                               // 000000008450: 0ACA0B65
	v_mul_f32_e32 v102, v102, v6                               // 000000008454: 0ACC0D66
	v_mul_f32_e32 v103, v103, v7                               // 000000008458: 0ACE0F67
	v_mul_f32_e32 v100, v100, v132                             // 00000000845C: 0AC90964
	v_mul_f32_e32 v101, v101, v133                             // 000000008460: 0ACB0B65
	v_mul_f32_e32 v102, v102, v134                             // 000000008464: 0ACD0D66
	v_mul_f32_e32 v103, v103, v135                             // 000000008468: 0ACF0F67
	v_pk_mul_f32 v[4:5], v[104:105], v[104:105]                // 00000000846C: D3B14004 1802D168
	v_pk_mul_f32 v[6:7], v[106:107], v[106:107]                // 000000008474: D3B14006 1802D56A
	v_pk_fma_f32 v[4:5], v[4:5], s[78:79], v[8:9]              // 00000000847C: D3B04004 1C209D04
	v_pk_fma_f32 v[6:7], v[6:7], s[78:79], v[8:9]              // 000000008484: D3B04006 1C209D06
	v_pk_mul_f32 v[4:5], v[4:5], v[104:105]                    // 00000000848C: D3B14004 1802D104
	v_pk_mul_f32 v[6:7], v[6:7], v[106:107]                    // 000000008494: D3B14006 1802D506
	v_pk_mul_f32 v[4:5], v[4:5], s[60:61]                      // 00000000849C: D3B14004 18007904
	v_pk_mul_f32 v[6:7], v[6:7], s[60:61]                      // 0000000084A4: D3B14006 18007906
	v_exp_f32_e32 v4, v4                                       // 0000000084AC: 7E084104
	v_exp_f32_e32 v5, v5                                       // 0000000084B0: 7E0A4105
	v_exp_f32_e32 v6, v6                                       // 0000000084B4: 7E0C4106
	v_exp_f32_e32 v7, v7                                       // 0000000084B8: 7E0E4107
	v_add_f32_e64 v4, v4, 1.0                                  // 0000000084BC: D1010004 0001E504
	v_add_f32_e64 v5, v5, 1.0                                  // 0000000084C4: D1010005 0001E505
	v_add_f32_e64 v6, v6, 1.0                                  // 0000000084CC: D1010006 0001E506
	v_add_f32_e64 v7, v7, 1.0                                  // 0000000084D4: D1010007 0001E507
	v_rcp_f32_e32 v4, v4                                       // 0000000084DC: 7E084504
	v_rcp_f32_e32 v5, v5                                       // 0000000084E0: 7E0A4505
	v_rcp_f32_e32 v6, v6                                       // 0000000084E4: 7E0C4506
	v_rcp_f32_e32 v7, v7                                       // 0000000084E8: 7E0E4507
	v_mul_f32_e32 v104, v104, v4                               // 0000000084EC: 0AD00968
	v_mul_f32_e32 v105, v105, v5                               // 0000000084F0: 0AD20B69
	v_mul_f32_e32 v106, v106, v6                               // 0000000084F4: 0AD40D6A
	v_mul_f32_e32 v107, v107, v7                               // 0000000084F8: 0AD60F6B
	v_mul_f32_e32 v104, v104, v136                             // 0000000084FC: 0AD11168
	v_mul_f32_e32 v105, v105, v137                             // 000000008500: 0AD31369
	v_mul_f32_e32 v106, v106, v138                             // 000000008504: 0AD5156A
	v_mul_f32_e32 v107, v107, v139                             // 000000008508: 0AD7176B
	v_pk_mul_f32 v[4:5], v[108:109], v[108:109]                // 00000000850C: D3B14004 1802D96C
	v_pk_mul_f32 v[6:7], v[110:111], v[110:111]                // 000000008514: D3B14006 1802DD6E
	v_pk_fma_f32 v[4:5], v[4:5], s[78:79], v[8:9]              // 00000000851C: D3B04004 1C209D04
	v_pk_fma_f32 v[6:7], v[6:7], s[78:79], v[8:9]              // 000000008524: D3B04006 1C209D06
	v_pk_mul_f32 v[4:5], v[4:5], v[108:109]                    // 00000000852C: D3B14004 1802D904
	v_pk_mul_f32 v[6:7], v[6:7], v[110:111]                    // 000000008534: D3B14006 1802DD06
	v_pk_mul_f32 v[4:5], v[4:5], s[60:61]                      // 00000000853C: D3B14004 18007904
	v_pk_mul_f32 v[6:7], v[6:7], s[60:61]                      // 000000008544: D3B14006 18007906
	v_exp_f32_e32 v4, v4                                       // 00000000854C: 7E084104
	v_exp_f32_e32 v5, v5                                       // 000000008550: 7E0A4105
	v_exp_f32_e32 v6, v6                                       // 000000008554: 7E0C4106
	v_exp_f32_e32 v7, v7                                       // 000000008558: 7E0E4107
	v_add_f32_e64 v4, v4, 1.0                                  // 00000000855C: D1010004 0001E504
	v_add_f32_e64 v5, v5, 1.0                                  // 000000008564: D1010005 0001E505
	v_add_f32_e64 v6, v6, 1.0                                  // 00000000856C: D1010006 0001E506
	v_add_f32_e64 v7, v7, 1.0                                  // 000000008574: D1010007 0001E507
	v_rcp_f32_e32 v4, v4                                       // 00000000857C: 7E084504
	v_rcp_f32_e32 v5, v5                                       // 000000008580: 7E0A4505
	v_rcp_f32_e32 v6, v6                                       // 000000008584: 7E0C4506
	v_rcp_f32_e32 v7, v7                                       // 000000008588: 7E0E4507
	v_mul_f32_e32 v108, v108, v4                               // 00000000858C: 0AD8096C
	v_mul_f32_e32 v109, v109, v5                               // 000000008590: 0ADA0B6D
	v_mul_f32_e32 v110, v110, v6                               // 000000008594: 0ADC0D6E
	v_mul_f32_e32 v111, v111, v7                               // 000000008598: 0ADE0F6F
	v_mul_f32_e32 v108, v108, v140                             // 00000000859C: 0AD9196C
	v_mul_f32_e32 v109, v109, v141                             // 0000000085A0: 0ADB1B6D
	v_mul_f32_e32 v110, v110, v142                             // 0000000085A4: 0ADD1D6E
	v_mul_f32_e32 v111, v111, v143                             // 0000000085A8: 0ADF1F6F
	s_branch label_17EF                                        // 0000000085AC: BF820100

00000000000085b0 <label_16EF>:
	v_mul_f32_e64 v4, -v80, s6                                 // 0000000085B0: D1050004 20000D50
	v_mul_f32_e64 v5, -v81, s6                                 // 0000000085B8: D1050005 20000D51
	v_mul_f32_e64 v6, -v82, s6                                 // 0000000085C0: D1050006 20000D52
	v_mul_f32_e64 v7, -v83, s6                                 // 0000000085C8: D1050007 20000D53
	v_exp_f32_e32 v4, v4                                       // 0000000085D0: 7E084104
	v_exp_f32_e32 v5, v5                                       // 0000000085D4: 7E0A4105
	v_exp_f32_e32 v6, v6                                       // 0000000085D8: 7E0C4106
	v_exp_f32_e32 v7, v7                                       // 0000000085DC: 7E0E4107
	v_add_f32_e64 v4, v4, 1.0                                  // 0000000085E0: D1010004 0001E504
	v_add_f32_e64 v5, v5, 1.0                                  // 0000000085E8: D1010005 0001E505
	v_add_f32_e64 v6, v6, 1.0                                  // 0000000085F0: D1010006 0001E506
	v_add_f32_e64 v7, v7, 1.0                                  // 0000000085F8: D1010007 0001E507
	v_rcp_f32_e32 v4, v4                                       // 000000008600: 7E084504
	v_rcp_f32_e32 v5, v5                                       // 000000008604: 7E0A4505
	v_rcp_f32_e32 v6, v6                                       // 000000008608: 7E0C4506
	v_rcp_f32_e32 v7, v7                                       // 00000000860C: 7E0E4507
	v_mul_f32_e32 v80, v80, v4                                 // 000000008610: 0AA00950
	v_mul_f32_e32 v81, v81, v5                                 // 000000008614: 0AA20B51
	v_mul_f32_e32 v82, v82, v6                                 // 000000008618: 0AA40D52
	v_mul_f32_e32 v83, v83, v7                                 // 00000000861C: 0AA60F53
	v_mul_f32_e32 v80, v80, v112                               // 000000008620: 0AA0E150
	v_mul_f32_e32 v81, v81, v113                               // 000000008624: 0AA2E351
	v_mul_f32_e32 v82, v82, v114                               // 000000008628: 0AA4E552
	v_mul_f32_e32 v83, v83, v115                               // 00000000862C: 0AA6E753
	v_mul_f32_e64 v4, -v84, s6                                 // 000000008630: D1050004 20000D54
	v_mul_f32_e64 v5, -v85, s6                                 // 000000008638: D1050005 20000D55
	v_mul_f32_e64 v6, -v86, s6                                 // 000000008640: D1050006 20000D56
	v_mul_f32_e64 v7, -v87, s6                                 // 000000008648: D1050007 20000D57
	v_exp_f32_e32 v4, v4                                       // 000000008650: 7E084104
	v_exp_f32_e32 v5, v5                                       // 000000008654: 7E0A4105
	v_exp_f32_e32 v6, v6                                       // 000000008658: 7E0C4106
	v_exp_f32_e32 v7, v7                                       // 00000000865C: 7E0E4107
	v_add_f32_e64 v4, v4, 1.0                                  // 000000008660: D1010004 0001E504
	v_add_f32_e64 v5, v5, 1.0                                  // 000000008668: D1010005 0001E505
	v_add_f32_e64 v6, v6, 1.0                                  // 000000008670: D1010006 0001E506
	v_add_f32_e64 v7, v7, 1.0                                  // 000000008678: D1010007 0001E507
	v_rcp_f32_e32 v4, v4                                       // 000000008680: 7E084504
	v_rcp_f32_e32 v5, v5                                       // 000000008684: 7E0A4505
	v_rcp_f32_e32 v6, v6                                       // 000000008688: 7E0C4506
	v_rcp_f32_e32 v7, v7                                       // 00000000868C: 7E0E4507
	v_mul_f32_e32 v84, v84, v4                                 // 000000008690: 0AA80954
	v_mul_f32_e32 v85, v85, v5                                 // 000000008694: 0AAA0B55
	v_mul_f32_e32 v86, v86, v6                                 // 000000008698: 0AAC0D56
	v_mul_f32_e32 v87, v87, v7                                 // 00000000869C: 0AAE0F57
	v_mul_f32_e32 v84, v84, v116                               // 0000000086A0: 0AA8E954
	v_mul_f32_e32 v85, v85, v117                               // 0000000086A4: 0AAAEB55
	v_mul_f32_e32 v86, v86, v118                               // 0000000086A8: 0AACED56
	v_mul_f32_e32 v87, v87, v119                               // 0000000086AC: 0AAEEF57
	v_mul_f32_e64 v4, -v88, s6                                 // 0000000086B0: D1050004 20000D58
	v_mul_f32_e64 v5, -v89, s6                                 // 0000000086B8: D1050005 20000D59
	v_mul_f32_e64 v6, -v90, s6                                 // 0000000086C0: D1050006 20000D5A
	v_mul_f32_e64 v7, -v91, s6                                 // 0000000086C8: D1050007 20000D5B
	v_exp_f32_e32 v4, v4                                       // 0000000086D0: 7E084104
	v_exp_f32_e32 v5, v5                                       // 0000000086D4: 7E0A4105
	v_exp_f32_e32 v6, v6                                       // 0000000086D8: 7E0C4106
	v_exp_f32_e32 v7, v7                                       // 0000000086DC: 7E0E4107
	v_add_f32_e64 v4, v4, 1.0                                  // 0000000086E0: D1010004 0001E504
	v_add_f32_e64 v5, v5, 1.0                                  // 0000000086E8: D1010005 0001E505
	v_add_f32_e64 v6, v6, 1.0                                  // 0000000086F0: D1010006 0001E506
	v_add_f32_e64 v7, v7, 1.0                                  // 0000000086F8: D1010007 0001E507
	v_rcp_f32_e32 v4, v4                                       // 000000008700: 7E084504
	v_rcp_f32_e32 v5, v5                                       // 000000008704: 7E0A4505
	v_rcp_f32_e32 v6, v6                                       // 000000008708: 7E0C4506
	v_rcp_f32_e32 v7, v7                                       // 00000000870C: 7E0E4507
	v_mul_f32_e32 v88, v88, v4                                 // 000000008710: 0AB00958
	v_mul_f32_e32 v89, v89, v5                                 // 000000008714: 0AB20B59
	v_mul_f32_e32 v90, v90, v6                                 // 000000008718: 0AB40D5A
	v_mul_f32_e32 v91, v91, v7                                 // 00000000871C: 0AB60F5B
	v_mul_f32_e32 v88, v88, v120                               // 000000008720: 0AB0F158
	v_mul_f32_e32 v89, v89, v121                               // 000000008724: 0AB2F359
	v_mul_f32_e32 v90, v90, v122                               // 000000008728: 0AB4F55A
	v_mul_f32_e32 v91, v91, v123                               // 00000000872C: 0AB6F75B
	v_mul_f32_e64 v4, -v92, s6                                 // 000000008730: D1050004 20000D5C
	v_mul_f32_e64 v5, -v93, s6                                 // 000000008738: D1050005 20000D5D
	v_mul_f32_e64 v6, -v94, s6                                 // 000000008740: D1050006 20000D5E
	v_mul_f32_e64 v7, -v95, s6                                 // 000000008748: D1050007 20000D5F
	v_exp_f32_e32 v4, v4                                       // 000000008750: 7E084104
	v_exp_f32_e32 v5, v5                                       // 000000008754: 7E0A4105
	v_exp_f32_e32 v6, v6                                       // 000000008758: 7E0C4106
	v_exp_f32_e32 v7, v7                                       // 00000000875C: 7E0E4107
	v_add_f32_e64 v4, v4, 1.0                                  // 000000008760: D1010004 0001E504
	v_add_f32_e64 v5, v5, 1.0                                  // 000000008768: D1010005 0001E505
	v_add_f32_e64 v6, v6, 1.0                                  // 000000008770: D1010006 0001E506
	v_add_f32_e64 v7, v7, 1.0                                  // 000000008778: D1010007 0001E507
	v_rcp_f32_e32 v4, v4                                       // 000000008780: 7E084504
	v_rcp_f32_e32 v5, v5                                       // 000000008784: 7E0A4505
	v_rcp_f32_e32 v6, v6                                       // 000000008788: 7E0C4506
	v_rcp_f32_e32 v7, v7                                       // 00000000878C: 7E0E4507
	v_mul_f32_e32 v92, v92, v4                                 // 000000008790: 0AB8095C
	v_mul_f32_e32 v93, v93, v5                                 // 000000008794: 0ABA0B5D
	v_mul_f32_e32 v94, v94, v6                                 // 000000008798: 0ABC0D5E
	v_mul_f32_e32 v95, v95, v7                                 // 00000000879C: 0ABE0F5F
	v_mul_f32_e32 v92, v92, v124                               // 0000000087A0: 0AB8F95C
	v_mul_f32_e32 v93, v93, v125                               // 0000000087A4: 0ABAFB5D
	v_mul_f32_e32 v94, v94, v126                               // 0000000087A8: 0ABCFD5E
	v_mul_f32_e32 v95, v95, v127                               // 0000000087AC: 0ABEFF5F
	v_mul_f32_e64 v4, -v96, s6                                 // 0000000087B0: D1050004 20000D60
	v_mul_f32_e64 v5, -v97, s6                                 // 0000000087B8: D1050005 20000D61
	v_mul_f32_e64 v6, -v98, s6                                 // 0000000087C0: D1050006 20000D62
	v_mul_f32_e64 v7, -v99, s6                                 // 0000000087C8: D1050007 20000D63
	v_exp_f32_e32 v4, v4                                       // 0000000087D0: 7E084104
	v_exp_f32_e32 v5, v5                                       // 0000000087D4: 7E0A4105
	v_exp_f32_e32 v6, v6                                       // 0000000087D8: 7E0C4106
	v_exp_f32_e32 v7, v7                                       // 0000000087DC: 7E0E4107
	v_add_f32_e64 v4, v4, 1.0                                  // 0000000087E0: D1010004 0001E504
	v_add_f32_e64 v5, v5, 1.0                                  // 0000000087E8: D1010005 0001E505
	v_add_f32_e64 v6, v6, 1.0                                  // 0000000087F0: D1010006 0001E506
	v_add_f32_e64 v7, v7, 1.0                                  // 0000000087F8: D1010007 0001E507
	v_rcp_f32_e32 v4, v4                                       // 000000008800: 7E084504
	v_rcp_f32_e32 v5, v5                                       // 000000008804: 7E0A4505
	v_rcp_f32_e32 v6, v6                                       // 000000008808: 7E0C4506
	v_rcp_f32_e32 v7, v7                                       // 00000000880C: 7E0E4507
	v_mul_f32_e32 v96, v96, v4                                 // 000000008810: 0AC00960
	v_mul_f32_e32 v97, v97, v5                                 // 000000008814: 0AC20B61
	v_mul_f32_e32 v98, v98, v6                                 // 000000008818: 0AC40D62
	v_mul_f32_e32 v99, v99, v7                                 // 00000000881C: 0AC60F63
	v_mul_f32_e32 v96, v96, v128                               // 000000008820: 0AC10160
	v_mul_f32_e32 v97, v97, v129                               // 000000008824: 0AC30361
	v_mul_f32_e32 v98, v98, v130                               // 000000008828: 0AC50562
	v_mul_f32_e32 v99, v99, v131                               // 00000000882C: 0AC70763
	v_mul_f32_e64 v4, -v100, s6                                // 000000008830: D1050004 20000D64
	v_mul_f32_e64 v5, -v101, s6                                // 000000008838: D1050005 20000D65
	v_mul_f32_e64 v6, -v102, s6                                // 000000008840: D1050006 20000D66
	v_mul_f32_e64 v7, -v103, s6                                // 000000008848: D1050007 20000D67
	v_exp_f32_e32 v4, v4                                       // 000000008850: 7E084104
	v_exp_f32_e32 v5, v5                                       // 000000008854: 7E0A4105
	v_exp_f32_e32 v6, v6                                       // 000000008858: 7E0C4106
	v_exp_f32_e32 v7, v7                                       // 00000000885C: 7E0E4107
	v_add_f32_e64 v4, v4, 1.0                                  // 000000008860: D1010004 0001E504
	v_add_f32_e64 v5, v5, 1.0                                  // 000000008868: D1010005 0001E505
	v_add_f32_e64 v6, v6, 1.0                                  // 000000008870: D1010006 0001E506
	v_add_f32_e64 v7, v7, 1.0                                  // 000000008878: D1010007 0001E507
	v_rcp_f32_e32 v4, v4                                       // 000000008880: 7E084504
	v_rcp_f32_e32 v5, v5                                       // 000000008884: 7E0A4505
	v_rcp_f32_e32 v6, v6                                       // 000000008888: 7E0C4506
	v_rcp_f32_e32 v7, v7                                       // 00000000888C: 7E0E4507
	v_mul_f32_e32 v100, v100, v4                               // 000000008890: 0AC80964
	v_mul_f32_e32 v101, v101, v5                               // 000000008894: 0ACA0B65
	v_mul_f32_e32 v102, v102, v6                               // 000000008898: 0ACC0D66
	v_mul_f32_e32 v103, v103, v7                               // 00000000889C: 0ACE0F67
	v_mul_f32_e32 v100, v100, v132                             // 0000000088A0: 0AC90964
	v_mul_f32_e32 v101, v101, v133                             // 0000000088A4: 0ACB0B65
	v_mul_f32_e32 v102, v102, v134                             // 0000000088A8: 0ACD0D66
	v_mul_f32_e32 v103, v103, v135                             // 0000000088AC: 0ACF0F67
	v_mul_f32_e64 v4, -v104, s6                                // 0000000088B0: D1050004 20000D68
	v_mul_f32_e64 v5, -v105, s6                                // 0000000088B8: D1050005 20000D69
	v_mul_f32_e64 v6, -v106, s6                                // 0000000088C0: D1050006 20000D6A
	v_mul_f32_e64 v7, -v107, s6                                // 0000000088C8: D1050007 20000D6B
	v_exp_f32_e32 v4, v4                                       // 0000000088D0: 7E084104
	v_exp_f32_e32 v5, v5                                       // 0000000088D4: 7E0A4105
	v_exp_f32_e32 v6, v6                                       // 0000000088D8: 7E0C4106
	v_exp_f32_e32 v7, v7                                       // 0000000088DC: 7E0E4107
	v_add_f32_e64 v4, v4, 1.0                                  // 0000000088E0: D1010004 0001E504
	v_add_f32_e64 v5, v5, 1.0                                  // 0000000088E8: D1010005 0001E505
	v_add_f32_e64 v6, v6, 1.0                                  // 0000000088F0: D1010006 0001E506
	v_add_f32_e64 v7, v7, 1.0                                  // 0000000088F8: D1010007 0001E507
	v_rcp_f32_e32 v4, v4                                       // 000000008900: 7E084504
	v_rcp_f32_e32 v5, v5                                       // 000000008904: 7E0A4505
	v_rcp_f32_e32 v6, v6                                       // 000000008908: 7E0C4506
	v_rcp_f32_e32 v7, v7                                       // 00000000890C: 7E0E4507
	v_mul_f32_e32 v104, v104, v4                               // 000000008910: 0AD00968
	v_mul_f32_e32 v105, v105, v5                               // 000000008914: 0AD20B69
	v_mul_f32_e32 v106, v106, v6                               // 000000008918: 0AD40D6A
	v_mul_f32_e32 v107, v107, v7                               // 00000000891C: 0AD60F6B
	v_mul_f32_e32 v104, v104, v136                             // 000000008920: 0AD11168
	v_mul_f32_e32 v105, v105, v137                             // 000000008924: 0AD31369
	v_mul_f32_e32 v106, v106, v138                             // 000000008928: 0AD5156A
	v_mul_f32_e32 v107, v107, v139                             // 00000000892C: 0AD7176B
	v_mul_f32_e64 v4, -v108, s6                                // 000000008930: D1050004 20000D6C
	v_mul_f32_e64 v5, -v109, s6                                // 000000008938: D1050005 20000D6D
	v_mul_f32_e64 v6, -v110, s6                                // 000000008940: D1050006 20000D6E
	v_mul_f32_e64 v7, -v111, s6                                // 000000008948: D1050007 20000D6F
	v_exp_f32_e32 v4, v4                                       // 000000008950: 7E084104
	v_exp_f32_e32 v5, v5                                       // 000000008954: 7E0A4105
	v_exp_f32_e32 v6, v6                                       // 000000008958: 7E0C4106
	v_exp_f32_e32 v7, v7                                       // 00000000895C: 7E0E4107
	v_add_f32_e64 v4, v4, 1.0                                  // 000000008960: D1010004 0001E504
	v_add_f32_e64 v5, v5, 1.0                                  // 000000008968: D1010005 0001E505
	v_add_f32_e64 v6, v6, 1.0                                  // 000000008970: D1010006 0001E506
	v_add_f32_e64 v7, v7, 1.0                                  // 000000008978: D1010007 0001E507
	v_rcp_f32_e32 v4, v4                                       // 000000008980: 7E084504
	v_rcp_f32_e32 v5, v5                                       // 000000008984: 7E0A4505
	v_rcp_f32_e32 v6, v6                                       // 000000008988: 7E0C4506
	v_rcp_f32_e32 v7, v7                                       // 00000000898C: 7E0E4507
	v_mul_f32_e32 v108, v108, v4                               // 000000008990: 0AD8096C
	v_mul_f32_e32 v109, v109, v5                               // 000000008994: 0ADA0B6D
	v_mul_f32_e32 v110, v110, v6                               // 000000008998: 0ADC0D6E
	v_mul_f32_e32 v111, v111, v7                               // 00000000899C: 0ADE0F6F
	v_mul_f32_e32 v108, v108, v140                             // 0000000089A0: 0AD9196C
	v_mul_f32_e32 v109, v109, v141                             // 0000000089A4: 0ADB1B6D
	v_mul_f32_e32 v110, v110, v142                             // 0000000089A8: 0ADD1D6E
	v_mul_f32_e32 v111, v111, v143                             // 0000000089AC: 0ADF1F6F

00000000000089b0 <label_17EF>:
	v_cmp_u_f32_e64 s[46:47], v80, v80                         // 0000000089B0: D048002E 0002A150
	v_add3_u32 v16, v80, v19, 1                                // 0000000089B8: D1FF0010 02062750
	v_cndmask_b32_e64 v4, v16, v18, s[46:47]                   // 0000000089C0: D1000004 00BA2510
	v_cmp_u_f32_e64 s[46:47], v81, v81                         // 0000000089C8: D048002E 0002A351
	v_add3_u32 v16, v81, v19, 1                                // 0000000089D0: D1FF0010 02062751
	v_cndmask_b32_e64 v5, v16, v18, s[46:47]                   // 0000000089D8: D1000005 00BA2510
	v_perm_b32 v80, v5, v4, s52                                // 0000000089E0: D1ED0050 00D20905
	v_cmp_u_f32_e64 s[46:47], v82, v82                         // 0000000089E8: D048002E 0002A552
	v_add3_u32 v16, v82, v19, 1                                // 0000000089F0: D1FF0010 02062752
	v_cndmask_b32_e64 v4, v16, v18, s[46:47]                   // 0000000089F8: D1000004 00BA2510
	v_cmp_u_f32_e64 s[46:47], v83, v83                         // 000000008A00: D048002E 0002A753
	v_add3_u32 v16, v83, v19, 1                                // 000000008A08: D1FF0010 02062753
	v_cndmask_b32_e64 v5, v16, v18, s[46:47]                   // 000000008A10: D1000005 00BA2510
	v_perm_b32 v81, v5, v4, s52                                // 000000008A18: D1ED0051 00D20905
	v_cmp_u_f32_e64 s[46:47], v84, v84                         // 000000008A20: D048002E 0002A954
	v_add3_u32 v16, v84, v19, 1                                // 000000008A28: D1FF0010 02062754
	v_cndmask_b32_e64 v4, v16, v18, s[46:47]                   // 000000008A30: D1000004 00BA2510
	v_cmp_u_f32_e64 s[46:47], v85, v85                         // 000000008A38: D048002E 0002AB55
	v_add3_u32 v16, v85, v19, 1                                // 000000008A40: D1FF0010 02062755
	v_cndmask_b32_e64 v5, v16, v18, s[46:47]                   // 000000008A48: D1000005 00BA2510
	v_perm_b32 v82, v5, v4, s52                                // 000000008A50: D1ED0052 00D20905
	v_cmp_u_f32_e64 s[46:47], v86, v86                         // 000000008A58: D048002E 0002AD56
	v_add3_u32 v16, v86, v19, 1                                // 000000008A60: D1FF0010 02062756
	v_cndmask_b32_e64 v4, v16, v18, s[46:47]                   // 000000008A68: D1000004 00BA2510
	v_cmp_u_f32_e64 s[46:47], v87, v87                         // 000000008A70: D048002E 0002AF57
	v_add3_u32 v16, v87, v19, 1                                // 000000008A78: D1FF0010 02062757
	v_cndmask_b32_e64 v5, v16, v18, s[46:47]                   // 000000008A80: D1000005 00BA2510
	v_perm_b32 v83, v5, v4, s52                                // 000000008A88: D1ED0053 00D20905
	v_cmp_u_f32_e64 s[46:47], v88, v88                         // 000000008A90: D048002E 0002B158
	v_add3_u32 v16, v88, v19, 1                                // 000000008A98: D1FF0010 02062758
	v_cndmask_b32_e64 v4, v16, v18, s[46:47]                   // 000000008AA0: D1000004 00BA2510
	v_cmp_u_f32_e64 s[46:47], v89, v89                         // 000000008AA8: D048002E 0002B359
	v_add3_u32 v16, v89, v19, 1                                // 000000008AB0: D1FF0010 02062759
	v_cndmask_b32_e64 v5, v16, v18, s[46:47]                   // 000000008AB8: D1000005 00BA2510
	v_perm_b32 v84, v5, v4, s52                                // 000000008AC0: D1ED0054 00D20905
	v_cmp_u_f32_e64 s[46:47], v90, v90                         // 000000008AC8: D048002E 0002B55A
	v_add3_u32 v16, v90, v19, 1                                // 000000008AD0: D1FF0010 0206275A
	v_cndmask_b32_e64 v4, v16, v18, s[46:47]                   // 000000008AD8: D1000004 00BA2510
	v_cmp_u_f32_e64 s[46:47], v91, v91                         // 000000008AE0: D048002E 0002B75B
	v_add3_u32 v16, v91, v19, 1                                // 000000008AE8: D1FF0010 0206275B
	v_cndmask_b32_e64 v5, v16, v18, s[46:47]                   // 000000008AF0: D1000005 00BA2510
	v_perm_b32 v85, v5, v4, s52                                // 000000008AF8: D1ED0055 00D20905
	v_cmp_u_f32_e64 s[46:47], v92, v92                         // 000000008B00: D048002E 0002B95C
	v_add3_u32 v16, v92, v19, 1                                // 000000008B08: D1FF0010 0206275C
	v_cndmask_b32_e64 v4, v16, v18, s[46:47]                   // 000000008B10: D1000004 00BA2510
	v_cmp_u_f32_e64 s[46:47], v93, v93                         // 000000008B18: D048002E 0002BB5D
	v_add3_u32 v16, v93, v19, 1                                // 000000008B20: D1FF0010 0206275D
	v_cndmask_b32_e64 v5, v16, v18, s[46:47]                   // 000000008B28: D1000005 00BA2510
	v_perm_b32 v86, v5, v4, s52                                // 000000008B30: D1ED0056 00D20905
	v_cmp_u_f32_e64 s[46:47], v94, v94                         // 000000008B38: D048002E 0002BD5E
	v_add3_u32 v16, v94, v19, 1                                // 000000008B40: D1FF0010 0206275E
	v_cndmask_b32_e64 v4, v16, v18, s[46:47]                   // 000000008B48: D1000004 00BA2510
	v_cmp_u_f32_e64 s[46:47], v95, v95                         // 000000008B50: D048002E 0002BF5F
	v_add3_u32 v16, v95, v19, 1                                // 000000008B58: D1FF0010 0206275F
	v_cndmask_b32_e64 v5, v16, v18, s[46:47]                   // 000000008B60: D1000005 00BA2510
	v_perm_b32 v87, v5, v4, s52                                // 000000008B68: D1ED0057 00D20905
	v_cmp_u_f32_e64 s[46:47], v96, v96                         // 000000008B70: D048002E 0002C160
	v_add3_u32 v16, v96, v19, 1                                // 000000008B78: D1FF0010 02062760
	v_cndmask_b32_e64 v4, v16, v18, s[46:47]                   // 000000008B80: D1000004 00BA2510
	v_cmp_u_f32_e64 s[46:47], v97, v97                         // 000000008B88: D048002E 0002C361
	v_add3_u32 v16, v97, v19, 1                                // 000000008B90: D1FF0010 02062761
	v_cndmask_b32_e64 v5, v16, v18, s[46:47]                   // 000000008B98: D1000005 00BA2510
	v_perm_b32 v88, v5, v4, s52                                // 000000008BA0: D1ED0058 00D20905
	v_cmp_u_f32_e64 s[46:47], v98, v98                         // 000000008BA8: D048002E 0002C562
	v_add3_u32 v16, v98, v19, 1                                // 000000008BB0: D1FF0010 02062762
	v_cndmask_b32_e64 v4, v16, v18, s[46:47]                   // 000000008BB8: D1000004 00BA2510
	v_cmp_u_f32_e64 s[46:47], v99, v99                         // 000000008BC0: D048002E 0002C763
	v_add3_u32 v16, v99, v19, 1                                // 000000008BC8: D1FF0010 02062763
	v_cndmask_b32_e64 v5, v16, v18, s[46:47]                   // 000000008BD0: D1000005 00BA2510
	v_perm_b32 v89, v5, v4, s52                                // 000000008BD8: D1ED0059 00D20905
	v_cmp_u_f32_e64 s[46:47], v100, v100                       // 000000008BE0: D048002E 0002C964
	v_add3_u32 v16, v100, v19, 1                               // 000000008BE8: D1FF0010 02062764
	v_cndmask_b32_e64 v4, v16, v18, s[46:47]                   // 000000008BF0: D1000004 00BA2510
	v_cmp_u_f32_e64 s[46:47], v101, v101                       // 000000008BF8: D048002E 0002CB65
	v_add3_u32 v16, v101, v19, 1                               // 000000008C00: D1FF0010 02062765
	v_cndmask_b32_e64 v5, v16, v18, s[46:47]                   // 000000008C08: D1000005 00BA2510
	v_perm_b32 v90, v5, v4, s52                                // 000000008C10: D1ED005A 00D20905
	v_cmp_u_f32_e64 s[46:47], v102, v102                       // 000000008C18: D048002E 0002CD66
	v_add3_u32 v16, v102, v19, 1                               // 000000008C20: D1FF0010 02062766
	v_cndmask_b32_e64 v4, v16, v18, s[46:47]                   // 000000008C28: D1000004 00BA2510
	v_cmp_u_f32_e64 s[46:47], v103, v103                       // 000000008C30: D048002E 0002CF67
	v_add3_u32 v16, v103, v19, 1                               // 000000008C38: D1FF0010 02062767
	v_cndmask_b32_e64 v5, v16, v18, s[46:47]                   // 000000008C40: D1000005 00BA2510
	v_perm_b32 v91, v5, v4, s52                                // 000000008C48: D1ED005B 00D20905
	v_cmp_u_f32_e64 s[46:47], v104, v104                       // 000000008C50: D048002E 0002D168
	v_add3_u32 v16, v104, v19, 1                               // 000000008C58: D1FF0010 02062768
	v_cndmask_b32_e64 v4, v16, v18, s[46:47]                   // 000000008C60: D1000004 00BA2510
	v_cmp_u_f32_e64 s[46:47], v105, v105                       // 000000008C68: D048002E 0002D369
	v_add3_u32 v16, v105, v19, 1                               // 000000008C70: D1FF0010 02062769
	v_cndmask_b32_e64 v5, v16, v18, s[46:47]                   // 000000008C78: D1000005 00BA2510
	v_perm_b32 v92, v5, v4, s52                                // 000000008C80: D1ED005C 00D20905
	v_cmp_u_f32_e64 s[46:47], v106, v106                       // 000000008C88: D048002E 0002D56A
	v_add3_u32 v16, v106, v19, 1                               // 000000008C90: D1FF0010 0206276A
	v_cndmask_b32_e64 v4, v16, v18, s[46:47]                   // 000000008C98: D1000004 00BA2510
	v_cmp_u_f32_e64 s[46:47], v107, v107                       // 000000008CA0: D048002E 0002D76B
	v_add3_u32 v16, v107, v19, 1                               // 000000008CA8: D1FF0010 0206276B
	v_cndmask_b32_e64 v5, v16, v18, s[46:47]                   // 000000008CB0: D1000005 00BA2510
	v_perm_b32 v93, v5, v4, s52                                // 000000008CB8: D1ED005D 00D20905
	v_cmp_u_f32_e64 s[46:47], v108, v108                       // 000000008CC0: D048002E 0002D96C
	v_add3_u32 v16, v108, v19, 1                               // 000000008CC8: D1FF0010 0206276C
	v_cndmask_b32_e64 v4, v16, v18, s[46:47]                   // 000000008CD0: D1000004 00BA2510
	v_cmp_u_f32_e64 s[46:47], v109, v109                       // 000000008CD8: D048002E 0002DB6D
	v_add3_u32 v16, v109, v19, 1                               // 000000008CE0: D1FF0010 0206276D
	v_cndmask_b32_e64 v5, v16, v18, s[46:47]                   // 000000008CE8: D1000005 00BA2510
	v_perm_b32 v94, v5, v4, s52                                // 000000008CF0: D1ED005E 00D20905
	v_cmp_u_f32_e64 s[46:47], v110, v110                       // 000000008CF8: D048002E 0002DD6E
	v_add3_u32 v16, v110, v19, 1                               // 000000008D00: D1FF0010 0206276E
	v_cndmask_b32_e64 v4, v16, v18, s[46:47]                   // 000000008D08: D1000004 00BA2510
	v_cmp_u_f32_e64 s[46:47], v111, v111                       // 000000008D10: D048002E 0002DF6F
	v_add3_u32 v16, v111, v19, 1                               // 000000008D18: D1FF0010 0206276F
	v_cndmask_b32_e64 v5, v16, v18, s[46:47]                   // 000000008D20: D1000005 00BA2510
	v_perm_b32 v95, v5, v4, s52                                // 000000008D28: D1ED005F 00D20905
	ds_write_b64 v20, v[80:81]                                 // 000000008D30: D89A0000 00005014
	ds_write_b64 v20, v[82:83] offset:2176                     // 000000008D38: D89A0880 00005214
	ds_write_b64 v20, v[84:85] offset:4352                     // 000000008D40: D89A1100 00005414
	ds_write_b64 v20, v[86:87] offset:6528                     // 000000008D48: D89A1980 00005614
	ds_write_b64 v20, v[88:89] offset:8704                     // 000000008D50: D89A2200 00005814
	ds_write_b64 v20, v[90:91] offset:10880                    // 000000008D58: D89A2A80 00005A14
	ds_write_b64 v20, v[92:93] offset:13056                    // 000000008D60: D89A3300 00005C14
	ds_write_b64 v20, v[94:95] offset:15232                    // 000000008D68: D89A3B80 00005E14
	v_lshrrev_b32_e32 v4, 5, v0                                // 000000008D70: 20080085
	v_xor_b32_e32 v5, 1, v4                                    // 000000008D74: 2A0A0881
	s_mul_i32 s60, s65, 2                                      // 000000008D78: 923C8241
	s_cmp_eq_u32 s88, 0                                        // 000000008D7C: BF068058
	s_cselect_b32 s61, 1, 4                                    // 000000008D80: 853D8481
	s_mul_i32 s60, s61, s60                                    // 000000008D84: 923C3C3D
	v_readlane_b32 s82, v3, 0                                  // 000000008D88: D2890052 00010103
	s_lshr_b32 s61, s82, 24                                    // 000000008D90: 8F3D9852
	s_and_b32 s82, s82, 0xffffff                               // 000000008D94: 8652FF52 00FFFFFF
	s_mul_i32 s82, s82, s71                                    // 000000008D9C: 92524752
	s_mul_i32 s61, s60, s61                                    // 000000008DA0: 923D3D3C
	s_add_u32 s82, s82, s61                                    // 000000008DA4: 80523D52
	v_mul_lo_u32 v6, v5, s82                                   // 000000008DA8: D2850006 0000A505
	v_readlane_b32 s82, v3, 1                                  // 000000008DB0: D2890052 00010303
	s_lshr_b32 s61, s82, 24                                    // 000000008DB8: 8F3D9852
	s_and_b32 s82, s82, 0xffffff                               // 000000008DBC: 8652FF52 00FFFFFF
	s_mul_i32 s82, s82, s71                                    // 000000008DC4: 92524752
	s_mul_i32 s61, s60, s61                                    // 000000008DC8: 923D3D3C
	s_add_u32 s82, s82, s61                                    // 000000008DCC: 80523D52
	v_mul_lo_u32 v7, v4, s82                                   // 000000008DD0: D2850007 0000A504
	v_add_u32_e32 v60, v6, v7                                  // 000000008DD8: 68780F06
	v_readlane_b32 s82, v3, 2                                  // 000000008DDC: D2890052 00010503
	s_lshr_b32 s61, s82, 24                                    // 000000008DE4: 8F3D9852
	s_and_b32 s82, s82, 0xffffff                               // 000000008DE8: 8652FF52 00FFFFFF
	s_mul_i32 s82, s82, s71                                    // 000000008DF0: 92524752
	s_mul_i32 s61, s60, s61                                    // 000000008DF4: 923D3D3C
	s_add_u32 s82, s82, s61                                    // 000000008DF8: 80523D52
	v_mul_lo_u32 v6, v5, s82                                   // 000000008DFC: D2850006 0000A505
	v_readlane_b32 s82, v3, 3                                  // 000000008E04: D2890052 00010703
	s_lshr_b32 s61, s82, 24                                    // 000000008E0C: 8F3D9852
	s_and_b32 s82, s82, 0xffffff                               // 000000008E10: 8652FF52 00FFFFFF
	s_mul_i32 s82, s82, s71                                    // 000000008E18: 92524752
	s_mul_i32 s61, s60, s61                                    // 000000008E1C: 923D3D3C
	s_add_u32 s82, s82, s61                                    // 000000008E20: 80523D52
	v_mul_lo_u32 v7, v4, s82                                   // 000000008E24: D2850007 0000A504
	v_add_u32_e32 v61, v6, v7                                  // 000000008E2C: 687A0F06
	v_readlane_b32 s82, v3, 4                                  // 000000008E30: D2890052 00010903
	s_lshr_b32 s61, s82, 24                                    // 000000008E38: 8F3D9852
	s_and_b32 s82, s82, 0xffffff                               // 000000008E3C: 8652FF52 00FFFFFF
	s_mul_i32 s82, s82, s71                                    // 000000008E44: 92524752
	s_mul_i32 s61, s60, s61                                    // 000000008E48: 923D3D3C
	s_add_u32 s82, s82, s61                                    // 000000008E4C: 80523D52
	v_mul_lo_u32 v6, v5, s82                                   // 000000008E50: D2850006 0000A505
	v_readlane_b32 s82, v3, 5                                  // 000000008E58: D2890052 00010B03
	s_lshr_b32 s61, s82, 24                                    // 000000008E60: 8F3D9852
	s_and_b32 s82, s82, 0xffffff                               // 000000008E64: 8652FF52 00FFFFFF
	s_mul_i32 s82, s82, s71                                    // 000000008E6C: 92524752
	s_mul_i32 s61, s60, s61                                    // 000000008E70: 923D3D3C
	s_add_u32 s82, s82, s61                                    // 000000008E74: 80523D52
	v_mul_lo_u32 v7, v4, s82                                   // 000000008E78: D2850007 0000A504
	v_add_u32_e32 v62, v6, v7                                  // 000000008E80: 687C0F06
	v_readlane_b32 s82, v3, 6                                  // 000000008E84: D2890052 00010D03
	s_lshr_b32 s61, s82, 24                                    // 000000008E8C: 8F3D9852
	s_and_b32 s82, s82, 0xffffff                               // 000000008E90: 8652FF52 00FFFFFF
	s_mul_i32 s82, s82, s71                                    // 000000008E98: 92524752
	s_mul_i32 s61, s60, s61                                    // 000000008E9C: 923D3D3C
	s_add_u32 s82, s82, s61                                    // 000000008EA0: 80523D52
	v_mul_lo_u32 v6, v5, s82                                   // 000000008EA4: D2850006 0000A505
	v_readlane_b32 s82, v3, 7                                  // 000000008EAC: D2890052 00010F03
	s_lshr_b32 s61, s82, 24                                    // 000000008EB4: 8F3D9852
	s_and_b32 s82, s82, 0xffffff                               // 000000008EB8: 8652FF52 00FFFFFF
	s_mul_i32 s82, s82, s71                                    // 000000008EC0: 92524752
	s_mul_i32 s61, s60, s61                                    // 000000008EC4: 923D3D3C
	s_add_u32 s82, s82, s61                                    // 000000008EC8: 80523D52
	v_mul_lo_u32 v7, v4, s82                                   // 000000008ECC: D2850007 0000A504
	v_add_u32_e32 v63, v6, v7                                  // 000000008ED4: 687E0F06
	v_readlane_b32 s82, v3, 8                                  // 000000008ED8: D2890052 00011103
	s_lshr_b32 s61, s82, 24                                    // 000000008EE0: 8F3D9852
	s_and_b32 s82, s82, 0xffffff                               // 000000008EE4: 8652FF52 00FFFFFF
	s_mul_i32 s82, s82, s71                                    // 000000008EEC: 92524752
	s_mul_i32 s61, s60, s61                                    // 000000008EF0: 923D3D3C
	s_add_u32 s82, s82, s61                                    // 000000008EF4: 80523D52
	v_mul_lo_u32 v6, v5, s82                                   // 000000008EF8: D2850006 0000A505
	v_readlane_b32 s82, v3, 9                                  // 000000008F00: D2890052 00011303
	s_lshr_b32 s61, s82, 24                                    // 000000008F08: 8F3D9852
	s_and_b32 s82, s82, 0xffffff                               // 000000008F0C: 8652FF52 00FFFFFF
	s_mul_i32 s82, s82, s71                                    // 000000008F14: 92524752
	s_mul_i32 s61, s60, s61                                    // 000000008F18: 923D3D3C
	s_add_u32 s82, s82, s61                                    // 000000008F1C: 80523D52
	v_mul_lo_u32 v7, v4, s82                                   // 000000008F20: D2850007 0000A504
	v_add_u32_e32 v64, v6, v7                                  // 000000008F28: 68800F06
	v_readlane_b32 s82, v3, 10                                 // 000000008F2C: D2890052 00011503
	s_lshr_b32 s61, s82, 24                                    // 000000008F34: 8F3D9852
	s_and_b32 s82, s82, 0xffffff                               // 000000008F38: 8652FF52 00FFFFFF
	s_mul_i32 s82, s82, s71                                    // 000000008F40: 92524752
	s_mul_i32 s61, s60, s61                                    // 000000008F44: 923D3D3C
	s_add_u32 s82, s82, s61                                    // 000000008F48: 80523D52
	v_mul_lo_u32 v6, v5, s82                                   // 000000008F4C: D2850006 0000A505
	v_readlane_b32 s82, v3, 11                                 // 000000008F54: D2890052 00011703
	s_lshr_b32 s61, s82, 24                                    // 000000008F5C: 8F3D9852
	s_and_b32 s82, s82, 0xffffff                               // 000000008F60: 8652FF52 00FFFFFF
	s_mul_i32 s82, s82, s71                                    // 000000008F68: 92524752
	s_mul_i32 s61, s60, s61                                    // 000000008F6C: 923D3D3C
	s_add_u32 s82, s82, s61                                    // 000000008F70: 80523D52
	v_mul_lo_u32 v7, v4, s82                                   // 000000008F74: D2850007 0000A504
	v_add_u32_e32 v65, v6, v7                                  // 000000008F7C: 68820F06
	v_readlane_b32 s82, v3, 12                                 // 000000008F80: D2890052 00011903
	s_lshr_b32 s61, s82, 24                                    // 000000008F88: 8F3D9852
	s_and_b32 s82, s82, 0xffffff                               // 000000008F8C: 8652FF52 00FFFFFF
	s_mul_i32 s82, s82, s71                                    // 000000008F94: 92524752
	s_mul_i32 s61, s60, s61                                    // 000000008F98: 923D3D3C
	s_add_u32 s82, s82, s61                                    // 000000008F9C: 80523D52
	v_mul_lo_u32 v6, v5, s82                                   // 000000008FA0: D2850006 0000A505
	v_readlane_b32 s82, v3, 13                                 // 000000008FA8: D2890052 00011B03
	s_lshr_b32 s61, s82, 24                                    // 000000008FB0: 8F3D9852
	s_and_b32 s82, s82, 0xffffff                               // 000000008FB4: 8652FF52 00FFFFFF
	s_mul_i32 s82, s82, s71                                    // 000000008FBC: 92524752
	s_mul_i32 s61, s60, s61                                    // 000000008FC0: 923D3D3C
	s_add_u32 s82, s82, s61                                    // 000000008FC4: 80523D52
	v_mul_lo_u32 v7, v4, s82                                   // 000000008FC8: D2850007 0000A504
	v_add_u32_e32 v66, v6, v7                                  // 000000008FD0: 68840F06
	v_readlane_b32 s82, v3, 14                                 // 000000008FD4: D2890052 00011D03
	s_lshr_b32 s61, s82, 24                                    // 000000008FDC: 8F3D9852
	s_and_b32 s82, s82, 0xffffff                               // 000000008FE0: 8652FF52 00FFFFFF
	s_mul_i32 s82, s82, s71                                    // 000000008FE8: 92524752
	s_mul_i32 s61, s60, s61                                    // 000000008FEC: 923D3D3C
	s_add_u32 s82, s82, s61                                    // 000000008FF0: 80523D52
	v_mul_lo_u32 v6, v5, s82                                   // 000000008FF4: D2850006 0000A505
	v_readlane_b32 s82, v3, 15                                 // 000000008FFC: D2890052 00011F03
	s_lshr_b32 s61, s82, 24                                    // 000000009004: 8F3D9852
	s_and_b32 s82, s82, 0xffffff                               // 000000009008: 8652FF52 00FFFFFF
	s_mul_i32 s82, s82, s71                                    // 000000009010: 92524752
	s_mul_i32 s61, s60, s61                                    // 000000009014: 923D3D3C
	s_add_u32 s82, s82, s61                                    // 000000009018: 80523D52
	v_mul_lo_u32 v7, v4, s82                                   // 00000000901C: D2850007 0000A504
	v_add_u32_e32 v67, v6, v7                                  // 000000009024: 68860F06
	v_readlane_b32 s82, v3, 16                                 // 000000009028: D2890052 00012103
	s_lshr_b32 s61, s82, 24                                    // 000000009030: 8F3D9852
	s_and_b32 s82, s82, 0xffffff                               // 000000009034: 8652FF52 00FFFFFF
	s_mul_i32 s82, s82, s71                                    // 00000000903C: 92524752
	s_mul_i32 s61, s60, s61                                    // 000000009040: 923D3D3C
	s_add_u32 s82, s82, s61                                    // 000000009044: 80523D52
	v_mul_lo_u32 v6, v5, s82                                   // 000000009048: D2850006 0000A505
	v_readlane_b32 s82, v3, 17                                 // 000000009050: D2890052 00012303
	s_lshr_b32 s61, s82, 24                                    // 000000009058: 8F3D9852
	s_and_b32 s82, s82, 0xffffff                               // 00000000905C: 8652FF52 00FFFFFF
	s_mul_i32 s82, s82, s71                                    // 000000009064: 92524752
	s_mul_i32 s61, s60, s61                                    // 000000009068: 923D3D3C
	s_add_u32 s82, s82, s61                                    // 00000000906C: 80523D52
	v_mul_lo_u32 v7, v4, s82                                   // 000000009070: D2850007 0000A504
	v_add_u32_e32 v68, v6, v7                                  // 000000009078: 68880F06
	v_readlane_b32 s82, v3, 18                                 // 00000000907C: D2890052 00012503
	s_lshr_b32 s61, s82, 24                                    // 000000009084: 8F3D9852
	s_and_b32 s82, s82, 0xffffff                               // 000000009088: 8652FF52 00FFFFFF
	s_mul_i32 s82, s82, s71                                    // 000000009090: 92524752
	s_mul_i32 s61, s60, s61                                    // 000000009094: 923D3D3C
	s_add_u32 s82, s82, s61                                    // 000000009098: 80523D52
	v_mul_lo_u32 v6, v5, s82                                   // 00000000909C: D2850006 0000A505
	v_readlane_b32 s82, v3, 19                                 // 0000000090A4: D2890052 00012703
	s_lshr_b32 s61, s82, 24                                    // 0000000090AC: 8F3D9852
	s_and_b32 s82, s82, 0xffffff                               // 0000000090B0: 8652FF52 00FFFFFF
	s_mul_i32 s82, s82, s71                                    // 0000000090B8: 92524752
	s_mul_i32 s61, s60, s61                                    // 0000000090BC: 923D3D3C
	s_add_u32 s82, s82, s61                                    // 0000000090C0: 80523D52
	v_mul_lo_u32 v7, v4, s82                                   // 0000000090C4: D2850007 0000A504
	v_add_u32_e32 v69, v6, v7                                  // 0000000090CC: 688A0F06
	v_readlane_b32 s82, v3, 20                                 // 0000000090D0: D2890052 00012903
	s_lshr_b32 s61, s82, 24                                    // 0000000090D8: 8F3D9852
	s_and_b32 s82, s82, 0xffffff                               // 0000000090DC: 8652FF52 00FFFFFF
	s_mul_i32 s82, s82, s71                                    // 0000000090E4: 92524752
	s_mul_i32 s61, s60, s61                                    // 0000000090E8: 923D3D3C
	s_add_u32 s82, s82, s61                                    // 0000000090EC: 80523D52
	v_mul_lo_u32 v6, v5, s82                                   // 0000000090F0: D2850006 0000A505
	v_readlane_b32 s82, v3, 21                                 // 0000000090F8: D2890052 00012B03
	s_lshr_b32 s61, s82, 24                                    // 000000009100: 8F3D9852
	s_and_b32 s82, s82, 0xffffff                               // 000000009104: 8652FF52 00FFFFFF
	s_mul_i32 s82, s82, s71                                    // 00000000910C: 92524752
	s_mul_i32 s61, s60, s61                                    // 000000009110: 923D3D3C
	s_add_u32 s82, s82, s61                                    // 000000009114: 80523D52
	v_mul_lo_u32 v7, v4, s82                                   // 000000009118: D2850007 0000A504
	v_add_u32_e32 v70, v6, v7                                  // 000000009120: 688C0F06
	v_readlane_b32 s82, v3, 22                                 // 000000009124: D2890052 00012D03
	s_lshr_b32 s61, s82, 24                                    // 00000000912C: 8F3D9852
	s_and_b32 s82, s82, 0xffffff                               // 000000009130: 8652FF52 00FFFFFF
	s_mul_i32 s82, s82, s71                                    // 000000009138: 92524752
	s_mul_i32 s61, s60, s61                                    // 00000000913C: 923D3D3C
	s_add_u32 s82, s82, s61                                    // 000000009140: 80523D52
	v_mul_lo_u32 v6, v5, s82                                   // 000000009144: D2850006 0000A505
	v_readlane_b32 s82, v3, 23                                 // 00000000914C: D2890052 00012F03
	s_lshr_b32 s61, s82, 24                                    // 000000009154: 8F3D9852
	s_and_b32 s82, s82, 0xffffff                               // 000000009158: 8652FF52 00FFFFFF
	s_mul_i32 s82, s82, s71                                    // 000000009160: 92524752
	s_mul_i32 s61, s60, s61                                    // 000000009164: 923D3D3C
	s_add_u32 s82, s82, s61                                    // 000000009168: 80523D52
	v_mul_lo_u32 v7, v4, s82                                   // 00000000916C: D2850007 0000A504
	v_add_u32_e32 v71, v6, v7                                  // 000000009174: 688E0F06
	v_readlane_b32 s82, v3, 24                                 // 000000009178: D2890052 00013103
	s_lshr_b32 s61, s82, 24                                    // 000000009180: 8F3D9852
	s_and_b32 s82, s82, 0xffffff                               // 000000009184: 8652FF52 00FFFFFF
	s_mul_i32 s82, s82, s71                                    // 00000000918C: 92524752
	s_mul_i32 s61, s60, s61                                    // 000000009190: 923D3D3C
	s_add_u32 s82, s82, s61                                    // 000000009194: 80523D52
	v_mul_lo_u32 v6, v5, s82                                   // 000000009198: D2850006 0000A505
	v_readlane_b32 s82, v3, 25                                 // 0000000091A0: D2890052 00013303
	s_lshr_b32 s61, s82, 24                                    // 0000000091A8: 8F3D9852
	s_and_b32 s82, s82, 0xffffff                               // 0000000091AC: 8652FF52 00FFFFFF
	s_mul_i32 s82, s82, s71                                    // 0000000091B4: 92524752
	s_mul_i32 s61, s60, s61                                    // 0000000091B8: 923D3D3C
	s_add_u32 s82, s82, s61                                    // 0000000091BC: 80523D52
	v_mul_lo_u32 v7, v4, s82                                   // 0000000091C0: D2850007 0000A504
	v_add_u32_e32 v72, v6, v7                                  // 0000000091C8: 68900F06
	v_readlane_b32 s82, v3, 26                                 // 0000000091CC: D2890052 00013503
	s_lshr_b32 s61, s82, 24                                    // 0000000091D4: 8F3D9852
	s_and_b32 s82, s82, 0xffffff                               // 0000000091D8: 8652FF52 00FFFFFF
	s_mul_i32 s82, s82, s71                                    // 0000000091E0: 92524752
	s_mul_i32 s61, s60, s61                                    // 0000000091E4: 923D3D3C
	s_add_u32 s82, s82, s61                                    // 0000000091E8: 80523D52
	v_mul_lo_u32 v6, v5, s82                                   // 0000000091EC: D2850006 0000A505
	v_readlane_b32 s82, v3, 27                                 // 0000000091F4: D2890052 00013703
	s_lshr_b32 s61, s82, 24                                    // 0000000091FC: 8F3D9852
	s_and_b32 s82, s82, 0xffffff                               // 000000009200: 8652FF52 00FFFFFF
	s_mul_i32 s82, s82, s71                                    // 000000009208: 92524752
	s_mul_i32 s61, s60, s61                                    // 00000000920C: 923D3D3C
	s_add_u32 s82, s82, s61                                    // 000000009210: 80523D52
	v_mul_lo_u32 v7, v4, s82                                   // 000000009214: D2850007 0000A504
	v_add_u32_e32 v73, v6, v7                                  // 00000000921C: 68920F06
	v_readlane_b32 s82, v3, 28                                 // 000000009220: D2890052 00013903
	s_lshr_b32 s61, s82, 24                                    // 000000009228: 8F3D9852
	s_and_b32 s82, s82, 0xffffff                               // 00000000922C: 8652FF52 00FFFFFF
	s_mul_i32 s82, s82, s71                                    // 000000009234: 92524752
	s_mul_i32 s61, s60, s61                                    // 000000009238: 923D3D3C
	s_add_u32 s82, s82, s61                                    // 00000000923C: 80523D52
	v_mul_lo_u32 v6, v5, s82                                   // 000000009240: D2850006 0000A505
	v_readlane_b32 s82, v3, 29                                 // 000000009248: D2890052 00013B03
	s_lshr_b32 s61, s82, 24                                    // 000000009250: 8F3D9852
	s_and_b32 s82, s82, 0xffffff                               // 000000009254: 8652FF52 00FFFFFF
	s_mul_i32 s82, s82, s71                                    // 00000000925C: 92524752
	s_mul_i32 s61, s60, s61                                    // 000000009260: 923D3D3C
	s_add_u32 s82, s82, s61                                    // 000000009264: 80523D52
	v_mul_lo_u32 v7, v4, s82                                   // 000000009268: D2850007 0000A504
	v_add_u32_e32 v74, v6, v7                                  // 000000009270: 68940F06
	v_readlane_b32 s82, v3, 30                                 // 000000009274: D2890052 00013D03
	s_lshr_b32 s61, s82, 24                                    // 00000000927C: 8F3D9852
	s_and_b32 s82, s82, 0xffffff                               // 000000009280: 8652FF52 00FFFFFF
	s_mul_i32 s82, s82, s71                                    // 000000009288: 92524752
	s_mul_i32 s61, s60, s61                                    // 00000000928C: 923D3D3C
	s_add_u32 s82, s82, s61                                    // 000000009290: 80523D52
	v_mul_lo_u32 v6, v5, s82                                   // 000000009294: D2850006 0000A505
	v_readlane_b32 s82, v3, 31                                 // 00000000929C: D2890052 00013F03
	s_lshr_b32 s61, s82, 24                                    // 0000000092A4: 8F3D9852
	s_and_b32 s82, s82, 0xffffff                               // 0000000092A8: 8652FF52 00FFFFFF
	s_mul_i32 s82, s82, s71                                    // 0000000092B0: 92524752
	s_mul_i32 s61, s60, s61                                    // 0000000092B4: 923D3D3C
	s_add_u32 s82, s82, s61                                    // 0000000092B8: 80523D52
	v_mul_lo_u32 v7, v4, s82                                   // 0000000092BC: D2850007 0000A504
	v_add_u32_e32 v75, v6, v7                                  // 0000000092C4: 68960F06
	v_and_b32_e32 v4, 31, v0                                   // 0000000092C8: 2608009F
	v_lshrrev_b32_e32 v4, 1, v4                                // 0000000092CC: 20080881
	s_cmp_eq_u32 s88, 0                                        // 0000000092D0: BF068058
	s_cselect_b32 s61, 2, 4                                    // 0000000092D4: 853D8482
	v_mul_lo_u32 v4, v4, s61                                   // 0000000092D8: D2850004 00007B04
	v_and_b32_e64 v5, v0, 1                                    // 0000000092E0: D1130005 00010300
	v_add_u32_e32 v4, v4, v5                                   // 0000000092E8: 68080B04
	v_lshlrev_b32_e32 v4, 2, v4                                // 0000000092EC: 24080882
	v_add_u32_e32 v60, v60, v4                                 // 0000000092F0: 6878093C
	v_add_u32_e32 v61, v61, v4                                 // 0000000092F4: 687A093D
	v_add_u32_e32 v62, v62, v4                                 // 0000000092F8: 687C093E
	v_add_u32_e32 v63, v63, v4                                 // 0000000092FC: 687E093F
	v_add_u32_e32 v64, v64, v4                                 // 000000009300: 68800940
	v_add_u32_e32 v65, v65, v4                                 // 000000009304: 68820941
	;; [unrolled: 1-line block ×3, first 2 shown]
	v_add_u32_e32 v67, v67, v4                                 // 00000000930C: 68860943
	v_add_u32_e32 v68, v68, v4                                 // 000000009310: 68880944
	v_add_u32_e32 v69, v69, v4                                 // 000000009314: 688A0945
	v_add_u32_e32 v70, v70, v4                                 // 000000009318: 688C0946
	v_add_u32_e32 v71, v71, v4                                 // 00000000931C: 688E0947
	v_add_u32_e32 v72, v72, v4                                 // 000000009320: 68900948
	v_add_u32_e32 v73, v73, v4                                 // 000000009324: 68920949
	v_add_u32_e32 v74, v74, v4                                 // 000000009328: 6894094A
	v_add_u32_e32 v75, v75, v4                                 // 00000000932C: 6896094B
	s_waitcnt lgkmcnt(0)                                       // 000000009330: BF8CC07F
	s_barrier                                                  // 000000009334: BF8A0000
	ds_read_b32 v80, v21                                       // 000000009338: D86C0000 50000015
	ds_read_b32 v81, v21 offset:64                             // 000000009340: D86C0040 51000015
	ds_read_b32 v82, v21 offset:2176                           // 000000009348: D86C0880 52000015
	ds_read_b32 v83, v21 offset:2240                           // 000000009350: D86C08C0 53000015
	ds_read_b32 v84, v21 offset:4352                           // 000000009358: D86C1100 54000015
	ds_read_b32 v85, v21 offset:4416                           // 000000009360: D86C1140 55000015
	ds_read_b32 v86, v21 offset:6528                           // 000000009368: D86C1980 56000015
	ds_read_b32 v87, v21 offset:6592                           // 000000009370: D86C19C0 57000015
	ds_read_b32 v88, v21 offset:8704                           // 000000009378: D86C2200 58000015
	ds_read_b32 v89, v21 offset:8768                           // 000000009380: D86C2240 59000015
	ds_read_b32 v90, v21 offset:10880                          // 000000009388: D86C2A80 5A000015
	ds_read_b32 v91, v21 offset:10944                          // 000000009390: D86C2AC0 5B000015
	ds_read_b32 v92, v21 offset:13056                          // 000000009398: D86C3300 5C000015
	ds_read_b32 v93, v21 offset:13120                          // 0000000093A0: D86C3340 5D000015
	ds_read_b32 v94, v21 offset:15232                          // 0000000093A8: D86C3B80 5E000015
	ds_read_b32 v95, v21 offset:15296                          // 0000000093B0: D86C3BC0 5F000015
	s_waitcnt lgkmcnt(0)                                       // 0000000093B8: BF8CC07F
	s_mov_b32 s36, -1                                          // 0000000093BC: BEA400C1
	s_mov_b32 s37, -1                                          // 0000000093C0: BEA500C1
	v_mov_b32_e32 v7, 0                                        // 0000000093C4: 7E0E0280
	s_or_b32 s9, s9, 0x40000                                   // 0000000093C8: 8709FF09 00040000
	s_mov_b64 exec, s[36:37]                                   // 0000000093D0: BEFE0124
	v_mov_b32_e32 v6, v60                                      // 0000000093D4: 7E0C033C
	s_mov_b64 s[60:61], 0                                      // 0000000093D8: BEBC0180
	v_readlane_b32 s82, v3, 0                                  // 0000000093DC: D2890052 00010103
	s_and_b32 s82, s82, 0xffffff                               // 0000000093E4: 8652FF52 00FFFFFF
	s_cmp_lt_u32 s82, s66                                      // 0000000093EC: BF0A4252
	s_cselect_b32 s20, s36, s60                                // 0000000093F0: 85143C24
	v_readlane_b32 s82, v3, 1                                  // 0000000093F4: D2890052 00010303
	s_and_b32 s82, s82, 0xffffff                               // 0000000093FC: 8652FF52 00FFFFFF
	s_cmp_lt_u32 s82, s66                                      // 000000009404: BF0A4252
	s_cselect_b32 s21, s36, s60                                // 000000009408: 85153C24
	s_mov_b64 exec, s[20:21]                                   // 00000000940C: BEFE0114
	buffer_store_dword v80, v6, s[8:11], 0 offen               // 000000009410: E0701000 80025006
	s_mov_b64 exec, s[36:37]                                   // 000000009418: BEFE0124
	v_mov_b32_e32 v6, v61                                      // 00000000941C: 7E0C033D
	s_mov_b64 s[60:61], 0                                      // 000000009420: BEBC0180
	v_readlane_b32 s82, v3, 2                                  // 000000009424: D2890052 00010503
	s_and_b32 s82, s82, 0xffffff                               // 00000000942C: 8652FF52 00FFFFFF
	s_cmp_lt_u32 s82, s66                                      // 000000009434: BF0A4252
	s_cselect_b32 s20, s36, s60                                // 000000009438: 85143C24
	v_readlane_b32 s82, v3, 3                                  // 00000000943C: D2890052 00010703
	s_and_b32 s82, s82, 0xffffff                               // 000000009444: 8652FF52 00FFFFFF
	s_cmp_lt_u32 s82, s66                                      // 00000000944C: BF0A4252
	s_cselect_b32 s21, s36, s60                                // 000000009450: 85153C24
	s_mov_b64 exec, s[20:21]                                   // 000000009454: BEFE0114
	buffer_store_dword v81, v6, s[8:11], 0 offen               // 000000009458: E0701000 80025106
	s_mov_b64 exec, s[36:37]                                   // 000000009460: BEFE0124
	v_mov_b32_e32 v6, v62                                      // 000000009464: 7E0C033E
	s_mov_b64 s[60:61], 0                                      // 000000009468: BEBC0180
	v_readlane_b32 s82, v3, 4                                  // 00000000946C: D2890052 00010903
	s_and_b32 s82, s82, 0xffffff                               // 000000009474: 8652FF52 00FFFFFF
	s_cmp_lt_u32 s82, s66                                      // 00000000947C: BF0A4252
	s_cselect_b32 s20, s36, s60                                // 000000009480: 85143C24
	v_readlane_b32 s82, v3, 5                                  // 000000009484: D2890052 00010B03
	s_and_b32 s82, s82, 0xffffff                               // 00000000948C: 8652FF52 00FFFFFF
	s_cmp_lt_u32 s82, s66                                      // 000000009494: BF0A4252
	s_cselect_b32 s21, s36, s60                                // 000000009498: 85153C24
	s_mov_b64 exec, s[20:21]                                   // 00000000949C: BEFE0114
	buffer_store_dword v82, v6, s[8:11], 0 offen               // 0000000094A0: E0701000 80025206
	s_mov_b64 exec, s[36:37]                                   // 0000000094A8: BEFE0124
	v_mov_b32_e32 v6, v63                                      // 0000000094AC: 7E0C033F
	s_mov_b64 s[60:61], 0                                      // 0000000094B0: BEBC0180
	v_readlane_b32 s82, v3, 6                                  // 0000000094B4: D2890052 00010D03
	s_and_b32 s82, s82, 0xffffff                               // 0000000094BC: 8652FF52 00FFFFFF
	s_cmp_lt_u32 s82, s66                                      // 0000000094C4: BF0A4252
	s_cselect_b32 s20, s36, s60                                // 0000000094C8: 85143C24
	v_readlane_b32 s82, v3, 7                                  // 0000000094CC: D2890052 00010F03
	s_and_b32 s82, s82, 0xffffff                               // 0000000094D4: 8652FF52 00FFFFFF
	s_cmp_lt_u32 s82, s66                                      // 0000000094DC: BF0A4252
	s_cselect_b32 s21, s36, s60                                // 0000000094E0: 85153C24
	s_mov_b64 exec, s[20:21]                                   // 0000000094E4: BEFE0114
	buffer_store_dword v83, v6, s[8:11], 0 offen               // 0000000094E8: E0701000 80025306
	s_mov_b64 exec, s[36:37]                                   // 0000000094F0: BEFE0124
	v_mov_b32_e32 v6, v64                                      // 0000000094F4: 7E0C0340
	s_mov_b64 s[60:61], 0                                      // 0000000094F8: BEBC0180
	v_readlane_b32 s82, v3, 8                                  // 0000000094FC: D2890052 00011103
	s_and_b32 s82, s82, 0xffffff                               // 000000009504: 8652FF52 00FFFFFF
	s_cmp_lt_u32 s82, s66                                      // 00000000950C: BF0A4252
	s_cselect_b32 s20, s36, s60                                // 000000009510: 85143C24
	v_readlane_b32 s82, v3, 9                                  // 000000009514: D2890052 00011303
	s_and_b32 s82, s82, 0xffffff                               // 00000000951C: 8652FF52 00FFFFFF
	s_cmp_lt_u32 s82, s66                                      // 000000009524: BF0A4252
	s_cselect_b32 s21, s36, s60                                // 000000009528: 85153C24
	s_mov_b64 exec, s[20:21]                                   // 00000000952C: BEFE0114
	buffer_store_dword v84, v6, s[8:11], 0 offen               // 000000009530: E0701000 80025406
	s_mov_b64 exec, s[36:37]                                   // 000000009538: BEFE0124
	v_mov_b32_e32 v6, v65                                      // 00000000953C: 7E0C0341
	s_mov_b64 s[60:61], 0                                      // 000000009540: BEBC0180
	v_readlane_b32 s82, v3, 10                                 // 000000009544: D2890052 00011503
	s_and_b32 s82, s82, 0xffffff                               // 00000000954C: 8652FF52 00FFFFFF
	s_cmp_lt_u32 s82, s66                                      // 000000009554: BF0A4252
	s_cselect_b32 s20, s36, s60                                // 000000009558: 85143C24
	v_readlane_b32 s82, v3, 11                                 // 00000000955C: D2890052 00011703
	s_and_b32 s82, s82, 0xffffff                               // 000000009564: 8652FF52 00FFFFFF
	s_cmp_lt_u32 s82, s66                                      // 00000000956C: BF0A4252
	s_cselect_b32 s21, s36, s60                                // 000000009570: 85153C24
	s_mov_b64 exec, s[20:21]                                   // 000000009574: BEFE0114
	buffer_store_dword v85, v6, s[8:11], 0 offen               // 000000009578: E0701000 80025506
	s_mov_b64 exec, s[36:37]                                   // 000000009580: BEFE0124
	v_mov_b32_e32 v6, v66                                      // 000000009584: 7E0C0342
	s_mov_b64 s[60:61], 0                                      // 000000009588: BEBC0180
	v_readlane_b32 s82, v3, 12                                 // 00000000958C: D2890052 00011903
	s_and_b32 s82, s82, 0xffffff                               // 000000009594: 8652FF52 00FFFFFF
	s_cmp_lt_u32 s82, s66                                      // 00000000959C: BF0A4252
	s_cselect_b32 s20, s36, s60                                // 0000000095A0: 85143C24
	v_readlane_b32 s82, v3, 13                                 // 0000000095A4: D2890052 00011B03
	s_and_b32 s82, s82, 0xffffff                               // 0000000095AC: 8652FF52 00FFFFFF
	s_cmp_lt_u32 s82, s66                                      // 0000000095B4: BF0A4252
	s_cselect_b32 s21, s36, s60                                // 0000000095B8: 85153C24
	s_mov_b64 exec, s[20:21]                                   // 0000000095BC: BEFE0114
	buffer_store_dword v86, v6, s[8:11], 0 offen               // 0000000095C0: E0701000 80025606
	s_mov_b64 exec, s[36:37]                                   // 0000000095C8: BEFE0124
	v_mov_b32_e32 v6, v67                                      // 0000000095CC: 7E0C0343
	s_mov_b64 s[60:61], 0                                      // 0000000095D0: BEBC0180
	v_readlane_b32 s82, v3, 14                                 // 0000000095D4: D2890052 00011D03
	s_and_b32 s82, s82, 0xffffff                               // 0000000095DC: 8652FF52 00FFFFFF
	s_cmp_lt_u32 s82, s66                                      // 0000000095E4: BF0A4252
	s_cselect_b32 s20, s36, s60                                // 0000000095E8: 85143C24
	v_readlane_b32 s82, v3, 15                                 // 0000000095EC: D2890052 00011F03
	s_and_b32 s82, s82, 0xffffff                               // 0000000095F4: 8652FF52 00FFFFFF
	s_cmp_lt_u32 s82, s66                                      // 0000000095FC: BF0A4252
	s_cselect_b32 s21, s36, s60                                // 000000009600: 85153C24
	s_mov_b64 exec, s[20:21]                                   // 000000009604: BEFE0114
	buffer_store_dword v87, v6, s[8:11], 0 offen               // 000000009608: E0701000 80025706
	s_mov_b64 exec, s[36:37]                                   // 000000009610: BEFE0124
	v_mov_b32_e32 v6, v68                                      // 000000009614: 7E0C0344
	s_mov_b64 s[60:61], 0                                      // 000000009618: BEBC0180
	v_readlane_b32 s82, v3, 16                                 // 00000000961C: D2890052 00012103
	s_and_b32 s82, s82, 0xffffff                               // 000000009624: 8652FF52 00FFFFFF
	s_cmp_lt_u32 s82, s66                                      // 00000000962C: BF0A4252
	s_cselect_b32 s20, s36, s60                                // 000000009630: 85143C24
	v_readlane_b32 s82, v3, 17                                 // 000000009634: D2890052 00012303
	s_and_b32 s82, s82, 0xffffff                               // 00000000963C: 8652FF52 00FFFFFF
	s_cmp_lt_u32 s82, s66                                      // 000000009644: BF0A4252
	s_cselect_b32 s21, s36, s60                                // 000000009648: 85153C24
	s_mov_b64 exec, s[20:21]                                   // 00000000964C: BEFE0114
	buffer_store_dword v88, v6, s[8:11], 0 offen               // 000000009650: E0701000 80025806
	s_mov_b64 exec, s[36:37]                                   // 000000009658: BEFE0124
	v_mov_b32_e32 v6, v69                                      // 00000000965C: 7E0C0345
	s_mov_b64 s[60:61], 0                                      // 000000009660: BEBC0180
	v_readlane_b32 s82, v3, 18                                 // 000000009664: D2890052 00012503
	s_and_b32 s82, s82, 0xffffff                               // 00000000966C: 8652FF52 00FFFFFF
	s_cmp_lt_u32 s82, s66                                      // 000000009674: BF0A4252
	s_cselect_b32 s20, s36, s60                                // 000000009678: 85143C24
	v_readlane_b32 s82, v3, 19                                 // 00000000967C: D2890052 00012703
	s_and_b32 s82, s82, 0xffffff                               // 000000009684: 8652FF52 00FFFFFF
	s_cmp_lt_u32 s82, s66                                      // 00000000968C: BF0A4252
	s_cselect_b32 s21, s36, s60                                // 000000009690: 85153C24
	s_mov_b64 exec, s[20:21]                                   // 000000009694: BEFE0114
	buffer_store_dword v89, v6, s[8:11], 0 offen               // 000000009698: E0701000 80025906
	s_mov_b64 exec, s[36:37]                                   // 0000000096A0: BEFE0124
	v_mov_b32_e32 v6, v70                                      // 0000000096A4: 7E0C0346
	s_mov_b64 s[60:61], 0                                      // 0000000096A8: BEBC0180
	v_readlane_b32 s82, v3, 20                                 // 0000000096AC: D2890052 00012903
	s_and_b32 s82, s82, 0xffffff                               // 0000000096B4: 8652FF52 00FFFFFF
	s_cmp_lt_u32 s82, s66                                      // 0000000096BC: BF0A4252
	s_cselect_b32 s20, s36, s60                                // 0000000096C0: 85143C24
	v_readlane_b32 s82, v3, 21                                 // 0000000096C4: D2890052 00012B03
	s_and_b32 s82, s82, 0xffffff                               // 0000000096CC: 8652FF52 00FFFFFF
	s_cmp_lt_u32 s82, s66                                      // 0000000096D4: BF0A4252
	s_cselect_b32 s21, s36, s60                                // 0000000096D8: 85153C24
	s_mov_b64 exec, s[20:21]                                   // 0000000096DC: BEFE0114
	buffer_store_dword v90, v6, s[8:11], 0 offen               // 0000000096E0: E0701000 80025A06
	s_mov_b64 exec, s[36:37]                                   // 0000000096E8: BEFE0124
	v_mov_b32_e32 v6, v71                                      // 0000000096EC: 7E0C0347
	s_mov_b64 s[60:61], 0                                      // 0000000096F0: BEBC0180
	v_readlane_b32 s82, v3, 22                                 // 0000000096F4: D2890052 00012D03
	s_and_b32 s82, s82, 0xffffff                               // 0000000096FC: 8652FF52 00FFFFFF
	s_cmp_lt_u32 s82, s66                                      // 000000009704: BF0A4252
	s_cselect_b32 s20, s36, s60                                // 000000009708: 85143C24
	v_readlane_b32 s82, v3, 23                                 // 00000000970C: D2890052 00012F03
	s_and_b32 s82, s82, 0xffffff                               // 000000009714: 8652FF52 00FFFFFF
	s_cmp_lt_u32 s82, s66                                      // 00000000971C: BF0A4252
	s_cselect_b32 s21, s36, s60                                // 000000009720: 85153C24
	s_mov_b64 exec, s[20:21]                                   // 000000009724: BEFE0114
	buffer_store_dword v91, v6, s[8:11], 0 offen               // 000000009728: E0701000 80025B06
	s_mov_b64 exec, s[36:37]                                   // 000000009730: BEFE0124
	v_mov_b32_e32 v6, v72                                      // 000000009734: 7E0C0348
	s_mov_b64 s[60:61], 0                                      // 000000009738: BEBC0180
	v_readlane_b32 s82, v3, 24                                 // 00000000973C: D2890052 00013103
	s_and_b32 s82, s82, 0xffffff                               // 000000009744: 8652FF52 00FFFFFF
	s_cmp_lt_u32 s82, s66                                      // 00000000974C: BF0A4252
	s_cselect_b32 s20, s36, s60                                // 000000009750: 85143C24
	v_readlane_b32 s82, v3, 25                                 // 000000009754: D2890052 00013303
	s_and_b32 s82, s82, 0xffffff                               // 00000000975C: 8652FF52 00FFFFFF
	s_cmp_lt_u32 s82, s66                                      // 000000009764: BF0A4252
	s_cselect_b32 s21, s36, s60                                // 000000009768: 85153C24
	s_mov_b64 exec, s[20:21]                                   // 00000000976C: BEFE0114
	buffer_store_dword v92, v6, s[8:11], 0 offen               // 000000009770: E0701000 80025C06
	s_mov_b64 exec, s[36:37]                                   // 000000009778: BEFE0124
	v_mov_b32_e32 v6, v73                                      // 00000000977C: 7E0C0349
	s_mov_b64 s[60:61], 0                                      // 000000009780: BEBC0180
	v_readlane_b32 s82, v3, 26                                 // 000000009784: D2890052 00013503
	s_and_b32 s82, s82, 0xffffff                               // 00000000978C: 8652FF52 00FFFFFF
	s_cmp_lt_u32 s82, s66                                      // 000000009794: BF0A4252
	s_cselect_b32 s20, s36, s60                                // 000000009798: 85143C24
	v_readlane_b32 s82, v3, 27                                 // 00000000979C: D2890052 00013703
	s_and_b32 s82, s82, 0xffffff                               // 0000000097A4: 8652FF52 00FFFFFF
	s_cmp_lt_u32 s82, s66                                      // 0000000097AC: BF0A4252
	s_cselect_b32 s21, s36, s60                                // 0000000097B0: 85153C24
	s_mov_b64 exec, s[20:21]                                   // 0000000097B4: BEFE0114
	buffer_store_dword v93, v6, s[8:11], 0 offen               // 0000000097B8: E0701000 80025D06
	s_mov_b64 exec, s[36:37]                                   // 0000000097C0: BEFE0124
	v_mov_b32_e32 v6, v74                                      // 0000000097C4: 7E0C034A
	s_mov_b64 s[60:61], 0                                      // 0000000097C8: BEBC0180
	v_readlane_b32 s82, v3, 28                                 // 0000000097CC: D2890052 00013903
	s_and_b32 s82, s82, 0xffffff                               // 0000000097D4: 8652FF52 00FFFFFF
	s_cmp_lt_u32 s82, s66                                      // 0000000097DC: BF0A4252
	s_cselect_b32 s20, s36, s60                                // 0000000097E0: 85143C24
	v_readlane_b32 s82, v3, 29                                 // 0000000097E4: D2890052 00013B03
	s_and_b32 s82, s82, 0xffffff                               // 0000000097EC: 8652FF52 00FFFFFF
	s_cmp_lt_u32 s82, s66                                      // 0000000097F4: BF0A4252
	s_cselect_b32 s21, s36, s60                                // 0000000097F8: 85153C24
	s_mov_b64 exec, s[20:21]                                   // 0000000097FC: BEFE0114
	buffer_store_dword v94, v6, s[8:11], 0 offen               // 000000009800: E0701000 80025E06
	s_mov_b64 exec, s[36:37]                                   // 000000009808: BEFE0124
	v_mov_b32_e32 v6, v75                                      // 00000000980C: 7E0C034B
	s_mov_b64 s[60:61], 0                                      // 000000009810: BEBC0180
	v_readlane_b32 s82, v3, 30                                 // 000000009814: D2890052 00013D03
	s_and_b32 s82, s82, 0xffffff                               // 00000000981C: 8652FF52 00FFFFFF
	s_cmp_lt_u32 s82, s66                                      // 000000009824: BF0A4252
	s_cselect_b32 s20, s36, s60                                // 000000009828: 85143C24
	v_readlane_b32 s82, v3, 31                                 // 00000000982C: D2890052 00013F03
	s_and_b32 s82, s82, 0xffffff                               // 000000009834: 8652FF52 00FFFFFF
	s_cmp_lt_u32 s82, s66                                      // 00000000983C: BF0A4252
	s_cselect_b32 s21, s36, s60                                // 000000009840: 85153C24
	s_mov_b64 exec, s[20:21]                                   // 000000009844: BEFE0114
	buffer_store_dword v95, v6, s[8:11], 0 offen               // 000000009848: E0701000 80025F06
	s_mov_b64 exec, s[36:37]                                   // 000000009850: BEFE0124
	s_branch label_2263                                        // 000000009854: BF8206CA

0000000000009858 <label_1B99>:
	ds_write_b64 v20, v[80:81]                                 // 000000009858: D89A0000 00005014
	ds_write_b64 v20, v[84:85] offset:2176                     // 000000009860: D89A0880 00005414
	ds_write_b64 v20, v[88:89] offset:4352                     // 000000009868: D89A1100 00005814
	ds_write_b64 v20, v[92:93] offset:6528                     // 000000009870: D89A1980 00005C14
	ds_write_b64 v20, v[96:97] offset:8704                     // 000000009878: D89A2200 00006014
	ds_write_b64 v20, v[100:101] offset:10880                  // 000000009880: D89A2A80 00006414
	ds_write_b64 v20, v[104:105] offset:13056                  // 000000009888: D89A3300 00006814
	ds_write_b64 v20, v[108:109] offset:15232                  // 000000009890: D89A3B80 00006C14
	v_lshrrev_b32_e32 v4, 5, v0                                // 000000009898: 20080085
	v_xor_b32_e32 v5, 1, v4                                    // 00000000989C: 2A0A0881
	s_mul_i32 s60, s65, 2                                      // 0000000098A0: 923C8241
	s_cmp_eq_u32 s88, 0                                        // 0000000098A4: BF068058
	s_cselect_b32 s61, 1, 4                                    // 0000000098A8: 853D8481
	s_mul_i32 s60, s61, s60                                    // 0000000098AC: 923C3C3D
	v_readlane_b32 s82, v3, 0                                  // 0000000098B0: D2890052 00010103
	s_lshr_b32 s61, s82, 24                                    // 0000000098B8: 8F3D9852
	s_and_b32 s82, s82, 0xffffff                               // 0000000098BC: 8652FF52 00FFFFFF
	s_mul_i32 s82, s82, s71                                    // 0000000098C4: 92524752
	s_mul_i32 s61, s60, s61                                    // 0000000098C8: 923D3D3C
	s_add_u32 s82, s82, s61                                    // 0000000098CC: 80523D52
	v_mul_lo_u32 v6, v5, s82                                   // 0000000098D0: D2850006 0000A505
	v_readlane_b32 s82, v3, 1                                  // 0000000098D8: D2890052 00010303
	s_lshr_b32 s61, s82, 24                                    // 0000000098E0: 8F3D9852
	s_and_b32 s82, s82, 0xffffff                               // 0000000098E4: 8652FF52 00FFFFFF
	s_mul_i32 s82, s82, s71                                    // 0000000098EC: 92524752
	s_mul_i32 s61, s60, s61                                    // 0000000098F0: 923D3D3C
	s_add_u32 s82, s82, s61                                    // 0000000098F4: 80523D52
	v_mul_lo_u32 v7, v4, s82                                   // 0000000098F8: D2850007 0000A504
	v_add_u32_e32 v60, v6, v7                                  // 000000009900: 68780F06
	v_readlane_b32 s82, v3, 2                                  // 000000009904: D2890052 00010503
	s_lshr_b32 s61, s82, 24                                    // 00000000990C: 8F3D9852
	s_and_b32 s82, s82, 0xffffff                               // 000000009910: 8652FF52 00FFFFFF
	s_mul_i32 s82, s82, s71                                    // 000000009918: 92524752
	s_mul_i32 s61, s60, s61                                    // 00000000991C: 923D3D3C
	s_add_u32 s82, s82, s61                                    // 000000009920: 80523D52
	v_mul_lo_u32 v6, v5, s82                                   // 000000009924: D2850006 0000A505
	v_readlane_b32 s82, v3, 3                                  // 00000000992C: D2890052 00010703
	s_lshr_b32 s61, s82, 24                                    // 000000009934: 8F3D9852
	s_and_b32 s82, s82, 0xffffff                               // 000000009938: 8652FF52 00FFFFFF
	s_mul_i32 s82, s82, s71                                    // 000000009940: 92524752
	s_mul_i32 s61, s60, s61                                    // 000000009944: 923D3D3C
	s_add_u32 s82, s82, s61                                    // 000000009948: 80523D52
	v_mul_lo_u32 v7, v4, s82                                   // 00000000994C: D2850007 0000A504
	v_add_u32_e32 v61, v6, v7                                  // 000000009954: 687A0F06
	v_readlane_b32 s82, v3, 4                                  // 000000009958: D2890052 00010903
	s_lshr_b32 s61, s82, 24                                    // 000000009960: 8F3D9852
	s_and_b32 s82, s82, 0xffffff                               // 000000009964: 8652FF52 00FFFFFF
	s_mul_i32 s82, s82, s71                                    // 00000000996C: 92524752
	s_mul_i32 s61, s60, s61                                    // 000000009970: 923D3D3C
	s_add_u32 s82, s82, s61                                    // 000000009974: 80523D52
	v_mul_lo_u32 v6, v5, s82                                   // 000000009978: D2850006 0000A505
	v_readlane_b32 s82, v3, 5                                  // 000000009980: D2890052 00010B03
	s_lshr_b32 s61, s82, 24                                    // 000000009988: 8F3D9852
	s_and_b32 s82, s82, 0xffffff                               // 00000000998C: 8652FF52 00FFFFFF
	s_mul_i32 s82, s82, s71                                    // 000000009994: 92524752
	s_mul_i32 s61, s60, s61                                    // 000000009998: 923D3D3C
	s_add_u32 s82, s82, s61                                    // 00000000999C: 80523D52
	v_mul_lo_u32 v7, v4, s82                                   // 0000000099A0: D2850007 0000A504
	v_add_u32_e32 v62, v6, v7                                  // 0000000099A8: 687C0F06
	v_readlane_b32 s82, v3, 6                                  // 0000000099AC: D2890052 00010D03
	s_lshr_b32 s61, s82, 24                                    // 0000000099B4: 8F3D9852
	s_and_b32 s82, s82, 0xffffff                               // 0000000099B8: 8652FF52 00FFFFFF
	s_mul_i32 s82, s82, s71                                    // 0000000099C0: 92524752
	s_mul_i32 s61, s60, s61                                    // 0000000099C4: 923D3D3C
	s_add_u32 s82, s82, s61                                    // 0000000099C8: 80523D52
	v_mul_lo_u32 v6, v5, s82                                   // 0000000099CC: D2850006 0000A505
	v_readlane_b32 s82, v3, 7                                  // 0000000099D4: D2890052 00010F03
	s_lshr_b32 s61, s82, 24                                    // 0000000099DC: 8F3D9852
	s_and_b32 s82, s82, 0xffffff                               // 0000000099E0: 8652FF52 00FFFFFF
	s_mul_i32 s82, s82, s71                                    // 0000000099E8: 92524752
	s_mul_i32 s61, s60, s61                                    // 0000000099EC: 923D3D3C
	s_add_u32 s82, s82, s61                                    // 0000000099F0: 80523D52
	v_mul_lo_u32 v7, v4, s82                                   // 0000000099F4: D2850007 0000A504
	v_add_u32_e32 v63, v6, v7                                  // 0000000099FC: 687E0F06
	v_readlane_b32 s82, v3, 8                                  // 000000009A00: D2890052 00011103
	s_lshr_b32 s61, s82, 24                                    // 000000009A08: 8F3D9852
	s_and_b32 s82, s82, 0xffffff                               // 000000009A0C: 8652FF52 00FFFFFF
	s_mul_i32 s82, s82, s71                                    // 000000009A14: 92524752
	s_mul_i32 s61, s60, s61                                    // 000000009A18: 923D3D3C
	s_add_u32 s82, s82, s61                                    // 000000009A1C: 80523D52
	v_mul_lo_u32 v6, v5, s82                                   // 000000009A20: D2850006 0000A505
	v_readlane_b32 s82, v3, 9                                  // 000000009A28: D2890052 00011303
	s_lshr_b32 s61, s82, 24                                    // 000000009A30: 8F3D9852
	s_and_b32 s82, s82, 0xffffff                               // 000000009A34: 8652FF52 00FFFFFF
	s_mul_i32 s82, s82, s71                                    // 000000009A3C: 92524752
	s_mul_i32 s61, s60, s61                                    // 000000009A40: 923D3D3C
	s_add_u32 s82, s82, s61                                    // 000000009A44: 80523D52
	v_mul_lo_u32 v7, v4, s82                                   // 000000009A48: D2850007 0000A504
	v_add_u32_e32 v64, v6, v7                                  // 000000009A50: 68800F06
	v_readlane_b32 s82, v3, 10                                 // 000000009A54: D2890052 00011503
	s_lshr_b32 s61, s82, 24                                    // 000000009A5C: 8F3D9852
	s_and_b32 s82, s82, 0xffffff                               // 000000009A60: 8652FF52 00FFFFFF
	s_mul_i32 s82, s82, s71                                    // 000000009A68: 92524752
	s_mul_i32 s61, s60, s61                                    // 000000009A6C: 923D3D3C
	s_add_u32 s82, s82, s61                                    // 000000009A70: 80523D52
	v_mul_lo_u32 v6, v5, s82                                   // 000000009A74: D2850006 0000A505
	v_readlane_b32 s82, v3, 11                                 // 000000009A7C: D2890052 00011703
	s_lshr_b32 s61, s82, 24                                    // 000000009A84: 8F3D9852
	s_and_b32 s82, s82, 0xffffff                               // 000000009A88: 8652FF52 00FFFFFF
	s_mul_i32 s82, s82, s71                                    // 000000009A90: 92524752
	s_mul_i32 s61, s60, s61                                    // 000000009A94: 923D3D3C
	s_add_u32 s82, s82, s61                                    // 000000009A98: 80523D52
	v_mul_lo_u32 v7, v4, s82                                   // 000000009A9C: D2850007 0000A504
	v_add_u32_e32 v65, v6, v7                                  // 000000009AA4: 68820F06
	v_readlane_b32 s82, v3, 12                                 // 000000009AA8: D2890052 00011903
	s_lshr_b32 s61, s82, 24                                    // 000000009AB0: 8F3D9852
	s_and_b32 s82, s82, 0xffffff                               // 000000009AB4: 8652FF52 00FFFFFF
	s_mul_i32 s82, s82, s71                                    // 000000009ABC: 92524752
	s_mul_i32 s61, s60, s61                                    // 000000009AC0: 923D3D3C
	s_add_u32 s82, s82, s61                                    // 000000009AC4: 80523D52
	v_mul_lo_u32 v6, v5, s82                                   // 000000009AC8: D2850006 0000A505
	v_readlane_b32 s82, v3, 13                                 // 000000009AD0: D2890052 00011B03
	s_lshr_b32 s61, s82, 24                                    // 000000009AD8: 8F3D9852
	s_and_b32 s82, s82, 0xffffff                               // 000000009ADC: 8652FF52 00FFFFFF
	s_mul_i32 s82, s82, s71                                    // 000000009AE4: 92524752
	s_mul_i32 s61, s60, s61                                    // 000000009AE8: 923D3D3C
	s_add_u32 s82, s82, s61                                    // 000000009AEC: 80523D52
	v_mul_lo_u32 v7, v4, s82                                   // 000000009AF0: D2850007 0000A504
	v_add_u32_e32 v66, v6, v7                                  // 000000009AF8: 68840F06
	v_readlane_b32 s82, v3, 14                                 // 000000009AFC: D2890052 00011D03
	s_lshr_b32 s61, s82, 24                                    // 000000009B04: 8F3D9852
	s_and_b32 s82, s82, 0xffffff                               // 000000009B08: 8652FF52 00FFFFFF
	s_mul_i32 s82, s82, s71                                    // 000000009B10: 92524752
	s_mul_i32 s61, s60, s61                                    // 000000009B14: 923D3D3C
	s_add_u32 s82, s82, s61                                    // 000000009B18: 80523D52
	v_mul_lo_u32 v6, v5, s82                                   // 000000009B1C: D2850006 0000A505
	v_readlane_b32 s82, v3, 15                                 // 000000009B24: D2890052 00011F03
	s_lshr_b32 s61, s82, 24                                    // 000000009B2C: 8F3D9852
	s_and_b32 s82, s82, 0xffffff                               // 000000009B30: 8652FF52 00FFFFFF
	s_mul_i32 s82, s82, s71                                    // 000000009B38: 92524752
	s_mul_i32 s61, s60, s61                                    // 000000009B3C: 923D3D3C
	s_add_u32 s82, s82, s61                                    // 000000009B40: 80523D52
	v_mul_lo_u32 v7, v4, s82                                   // 000000009B44: D2850007 0000A504
	v_add_u32_e32 v67, v6, v7                                  // 000000009B4C: 68860F06
	v_readlane_b32 s82, v3, 16                                 // 000000009B50: D2890052 00012103
	s_lshr_b32 s61, s82, 24                                    // 000000009B58: 8F3D9852
	s_and_b32 s82, s82, 0xffffff                               // 000000009B5C: 8652FF52 00FFFFFF
	s_mul_i32 s82, s82, s71                                    // 000000009B64: 92524752
	s_mul_i32 s61, s60, s61                                    // 000000009B68: 923D3D3C
	s_add_u32 s82, s82, s61                                    // 000000009B6C: 80523D52
	v_mul_lo_u32 v6, v5, s82                                   // 000000009B70: D2850006 0000A505
	v_readlane_b32 s82, v3, 17                                 // 000000009B78: D2890052 00012303
	s_lshr_b32 s61, s82, 24                                    // 000000009B80: 8F3D9852
	s_and_b32 s82, s82, 0xffffff                               // 000000009B84: 8652FF52 00FFFFFF
	s_mul_i32 s82, s82, s71                                    // 000000009B8C: 92524752
	s_mul_i32 s61, s60, s61                                    // 000000009B90: 923D3D3C
	s_add_u32 s82, s82, s61                                    // 000000009B94: 80523D52
	v_mul_lo_u32 v7, v4, s82                                   // 000000009B98: D2850007 0000A504
	v_add_u32_e32 v68, v6, v7                                  // 000000009BA0: 68880F06
	v_readlane_b32 s82, v3, 18                                 // 000000009BA4: D2890052 00012503
	s_lshr_b32 s61, s82, 24                                    // 000000009BAC: 8F3D9852
	s_and_b32 s82, s82, 0xffffff                               // 000000009BB0: 8652FF52 00FFFFFF
	s_mul_i32 s82, s82, s71                                    // 000000009BB8: 92524752
	s_mul_i32 s61, s60, s61                                    // 000000009BBC: 923D3D3C
	s_add_u32 s82, s82, s61                                    // 000000009BC0: 80523D52
	v_mul_lo_u32 v6, v5, s82                                   // 000000009BC4: D2850006 0000A505
	v_readlane_b32 s82, v3, 19                                 // 000000009BCC: D2890052 00012703
	s_lshr_b32 s61, s82, 24                                    // 000000009BD4: 8F3D9852
	s_and_b32 s82, s82, 0xffffff                               // 000000009BD8: 8652FF52 00FFFFFF
	s_mul_i32 s82, s82, s71                                    // 000000009BE0: 92524752
	s_mul_i32 s61, s60, s61                                    // 000000009BE4: 923D3D3C
	s_add_u32 s82, s82, s61                                    // 000000009BE8: 80523D52
	v_mul_lo_u32 v7, v4, s82                                   // 000000009BEC: D2850007 0000A504
	v_add_u32_e32 v69, v6, v7                                  // 000000009BF4: 688A0F06
	v_readlane_b32 s82, v3, 20                                 // 000000009BF8: D2890052 00012903
	s_lshr_b32 s61, s82, 24                                    // 000000009C00: 8F3D9852
	s_and_b32 s82, s82, 0xffffff                               // 000000009C04: 8652FF52 00FFFFFF
	s_mul_i32 s82, s82, s71                                    // 000000009C0C: 92524752
	s_mul_i32 s61, s60, s61                                    // 000000009C10: 923D3D3C
	s_add_u32 s82, s82, s61                                    // 000000009C14: 80523D52
	v_mul_lo_u32 v6, v5, s82                                   // 000000009C18: D2850006 0000A505
	v_readlane_b32 s82, v3, 21                                 // 000000009C20: D2890052 00012B03
	s_lshr_b32 s61, s82, 24                                    // 000000009C28: 8F3D9852
	s_and_b32 s82, s82, 0xffffff                               // 000000009C2C: 8652FF52 00FFFFFF
	s_mul_i32 s82, s82, s71                                    // 000000009C34: 92524752
	s_mul_i32 s61, s60, s61                                    // 000000009C38: 923D3D3C
	s_add_u32 s82, s82, s61                                    // 000000009C3C: 80523D52
	v_mul_lo_u32 v7, v4, s82                                   // 000000009C40: D2850007 0000A504
	v_add_u32_e32 v70, v6, v7                                  // 000000009C48: 688C0F06
	v_readlane_b32 s82, v3, 22                                 // 000000009C4C: D2890052 00012D03
	s_lshr_b32 s61, s82, 24                                    // 000000009C54: 8F3D9852
	s_and_b32 s82, s82, 0xffffff                               // 000000009C58: 8652FF52 00FFFFFF
	s_mul_i32 s82, s82, s71                                    // 000000009C60: 92524752
	s_mul_i32 s61, s60, s61                                    // 000000009C64: 923D3D3C
	s_add_u32 s82, s82, s61                                    // 000000009C68: 80523D52
	v_mul_lo_u32 v6, v5, s82                                   // 000000009C6C: D2850006 0000A505
	v_readlane_b32 s82, v3, 23                                 // 000000009C74: D2890052 00012F03
	s_lshr_b32 s61, s82, 24                                    // 000000009C7C: 8F3D9852
	s_and_b32 s82, s82, 0xffffff                               // 000000009C80: 8652FF52 00FFFFFF
	s_mul_i32 s82, s82, s71                                    // 000000009C88: 92524752
	s_mul_i32 s61, s60, s61                                    // 000000009C8C: 923D3D3C
	s_add_u32 s82, s82, s61                                    // 000000009C90: 80523D52
	v_mul_lo_u32 v7, v4, s82                                   // 000000009C94: D2850007 0000A504
	v_add_u32_e32 v71, v6, v7                                  // 000000009C9C: 688E0F06
	v_readlane_b32 s82, v3, 24                                 // 000000009CA0: D2890052 00013103
	s_lshr_b32 s61, s82, 24                                    // 000000009CA8: 8F3D9852
	s_and_b32 s82, s82, 0xffffff                               // 000000009CAC: 8652FF52 00FFFFFF
	s_mul_i32 s82, s82, s71                                    // 000000009CB4: 92524752
	s_mul_i32 s61, s60, s61                                    // 000000009CB8: 923D3D3C
	s_add_u32 s82, s82, s61                                    // 000000009CBC: 80523D52
	v_mul_lo_u32 v6, v5, s82                                   // 000000009CC0: D2850006 0000A505
	v_readlane_b32 s82, v3, 25                                 // 000000009CC8: D2890052 00013303
	s_lshr_b32 s61, s82, 24                                    // 000000009CD0: 8F3D9852
	s_and_b32 s82, s82, 0xffffff                               // 000000009CD4: 8652FF52 00FFFFFF
	s_mul_i32 s82, s82, s71                                    // 000000009CDC: 92524752
	s_mul_i32 s61, s60, s61                                    // 000000009CE0: 923D3D3C
	s_add_u32 s82, s82, s61                                    // 000000009CE4: 80523D52
	v_mul_lo_u32 v7, v4, s82                                   // 000000009CE8: D2850007 0000A504
	v_add_u32_e32 v72, v6, v7                                  // 000000009CF0: 68900F06
	v_readlane_b32 s82, v3, 26                                 // 000000009CF4: D2890052 00013503
	s_lshr_b32 s61, s82, 24                                    // 000000009CFC: 8F3D9852
	s_and_b32 s82, s82, 0xffffff                               // 000000009D00: 8652FF52 00FFFFFF
	s_mul_i32 s82, s82, s71                                    // 000000009D08: 92524752
	s_mul_i32 s61, s60, s61                                    // 000000009D0C: 923D3D3C
	s_add_u32 s82, s82, s61                                    // 000000009D10: 80523D52
	v_mul_lo_u32 v6, v5, s82                                   // 000000009D14: D2850006 0000A505
	v_readlane_b32 s82, v3, 27                                 // 000000009D1C: D2890052 00013703
	s_lshr_b32 s61, s82, 24                                    // 000000009D24: 8F3D9852
	s_and_b32 s82, s82, 0xffffff                               // 000000009D28: 8652FF52 00FFFFFF
	s_mul_i32 s82, s82, s71                                    // 000000009D30: 92524752
	s_mul_i32 s61, s60, s61                                    // 000000009D34: 923D3D3C
	s_add_u32 s82, s82, s61                                    // 000000009D38: 80523D52
	v_mul_lo_u32 v7, v4, s82                                   // 000000009D3C: D2850007 0000A504
	v_add_u32_e32 v73, v6, v7                                  // 000000009D44: 68920F06
	v_readlane_b32 s82, v3, 28                                 // 000000009D48: D2890052 00013903
	s_lshr_b32 s61, s82, 24                                    // 000000009D50: 8F3D9852
	s_and_b32 s82, s82, 0xffffff                               // 000000009D54: 8652FF52 00FFFFFF
	s_mul_i32 s82, s82, s71                                    // 000000009D5C: 92524752
	s_mul_i32 s61, s60, s61                                    // 000000009D60: 923D3D3C
	s_add_u32 s82, s82, s61                                    // 000000009D64: 80523D52
	v_mul_lo_u32 v6, v5, s82                                   // 000000009D68: D2850006 0000A505
	v_readlane_b32 s82, v3, 29                                 // 000000009D70: D2890052 00013B03
	s_lshr_b32 s61, s82, 24                                    // 000000009D78: 8F3D9852
	s_and_b32 s82, s82, 0xffffff                               // 000000009D7C: 8652FF52 00FFFFFF
	s_mul_i32 s82, s82, s71                                    // 000000009D84: 92524752
	s_mul_i32 s61, s60, s61                                    // 000000009D88: 923D3D3C
	s_add_u32 s82, s82, s61                                    // 000000009D8C: 80523D52
	v_mul_lo_u32 v7, v4, s82                                   // 000000009D90: D2850007 0000A504
	v_add_u32_e32 v74, v6, v7                                  // 000000009D98: 68940F06
	v_readlane_b32 s82, v3, 30                                 // 000000009D9C: D2890052 00013D03
	s_lshr_b32 s61, s82, 24                                    // 000000009DA4: 8F3D9852
	s_and_b32 s82, s82, 0xffffff                               // 000000009DA8: 8652FF52 00FFFFFF
	s_mul_i32 s82, s82, s71                                    // 000000009DB0: 92524752
	s_mul_i32 s61, s60, s61                                    // 000000009DB4: 923D3D3C
	s_add_u32 s82, s82, s61                                    // 000000009DB8: 80523D52
	v_mul_lo_u32 v6, v5, s82                                   // 000000009DBC: D2850006 0000A505
	v_readlane_b32 s82, v3, 31                                 // 000000009DC4: D2890052 00013F03
	s_lshr_b32 s61, s82, 24                                    // 000000009DCC: 8F3D9852
	s_and_b32 s82, s82, 0xffffff                               // 000000009DD0: 8652FF52 00FFFFFF
	s_mul_i32 s82, s82, s71                                    // 000000009DD8: 92524752
	s_mul_i32 s61, s60, s61                                    // 000000009DDC: 923D3D3C
	s_add_u32 s82, s82, s61                                    // 000000009DE0: 80523D52
	v_mul_lo_u32 v7, v4, s82                                   // 000000009DE4: D2850007 0000A504
	v_add_u32_e32 v75, v6, v7                                  // 000000009DEC: 68960F06
	v_and_b32_e32 v4, 31, v0                                   // 000000009DF0: 2608009F
	v_lshrrev_b32_e32 v4, 1, v4                                // 000000009DF4: 20080881
	s_cmp_eq_u32 s88, 0                                        // 000000009DF8: BF068058
	s_cselect_b32 s61, 2, 4                                    // 000000009DFC: 853D8482
	v_mul_lo_u32 v4, v4, s61                                   // 000000009E00: D2850004 00007B04
	v_and_b32_e64 v5, v0, 1                                    // 000000009E08: D1130005 00010300
	v_add_u32_e32 v4, v4, v5                                   // 000000009E10: 68080B04
	v_lshlrev_b32_e32 v4, 2, v4                                // 000000009E14: 24080882
	v_add_u32_e32 v60, v60, v4                                 // 000000009E18: 6878093C
	v_add_u32_e32 v61, v61, v4                                 // 000000009E1C: 687A093D
	v_add_u32_e32 v62, v62, v4                                 // 000000009E20: 687C093E
	v_add_u32_e32 v63, v63, v4                                 // 000000009E24: 687E093F
	v_add_u32_e32 v64, v64, v4                                 // 000000009E28: 68800940
	v_add_u32_e32 v65, v65, v4                                 // 000000009E2C: 68820941
	v_add_u32_e32 v66, v66, v4                                 // 000000009E30: 68840942
	v_add_u32_e32 v67, v67, v4                                 // 000000009E34: 68860943
	v_add_u32_e32 v68, v68, v4                                 // 000000009E38: 68880944
	v_add_u32_e32 v69, v69, v4                                 // 000000009E3C: 688A0945
	v_add_u32_e32 v70, v70, v4                                 // 000000009E40: 688C0946
	v_add_u32_e32 v71, v71, v4                                 // 000000009E44: 688E0947
	v_add_u32_e32 v72, v72, v4                                 // 000000009E48: 68900948
	v_add_u32_e32 v73, v73, v4                                 // 000000009E4C: 68920949
	v_add_u32_e32 v74, v74, v4                                 // 000000009E50: 6894094A
	v_add_u32_e32 v75, v75, v4                                 // 000000009E54: 6896094B
	s_waitcnt lgkmcnt(0)                                       // 000000009E58: BF8CC07F
	s_barrier                                                  // 000000009E5C: BF8A0000
	ds_read_b32 v80, v21                                       // 000000009E60: D86C0000 50000015
	ds_read_b32 v81, v21 offset:64                             // 000000009E68: D86C0040 51000015
	ds_read_b32 v84, v21 offset:2176                           // 000000009E70: D86C0880 54000015
	ds_read_b32 v85, v21 offset:2240                           // 000000009E78: D86C08C0 55000015
	ds_read_b32 v88, v21 offset:4352                           // 000000009E80: D86C1100 58000015
	ds_read_b32 v89, v21 offset:4416                           // 000000009E88: D86C1140 59000015
	ds_read_b32 v92, v21 offset:6528                           // 000000009E90: D86C1980 5C000015
	ds_read_b32 v93, v21 offset:6592                           // 000000009E98: D86C19C0 5D000015
	ds_read_b32 v96, v21 offset:8704                           // 000000009EA0: D86C2200 60000015
	ds_read_b32 v97, v21 offset:8768                           // 000000009EA8: D86C2240 61000015
	ds_read_b32 v100, v21 offset:10880                         // 000000009EB0: D86C2A80 64000015
	ds_read_b32 v101, v21 offset:10944                         // 000000009EB8: D86C2AC0 65000015
	ds_read_b32 v104, v21 offset:13056                         // 000000009EC0: D86C3300 68000015
	ds_read_b32 v105, v21 offset:13120                         // 000000009EC8: D86C3340 69000015
	ds_read_b32 v108, v21 offset:15232                         // 000000009ED0: D86C3B80 6C000015
	ds_read_b32 v109, v21 offset:15296                         // 000000009ED8: D86C3BC0 6D000015
	s_waitcnt lgkmcnt(0)                                       // 000000009EE0: BF8CC07F
	s_mov_b32 s36, -1                                          // 000000009EE4: BEA400C1
	s_mov_b32 s37, -1                                          // 000000009EE8: BEA500C1
	v_mov_b32_e32 v7, 0                                        // 000000009EEC: 7E0E0280
	s_mov_b64 exec, s[36:37]                                   // 000000009EF0: BEFE0124
	v_mov_b32_e32 v6, v60                                      // 000000009EF4: 7E0C033C
	s_mov_b64 s[60:61], 0                                      // 000000009EF8: BEBC0180
	v_readlane_b32 s82, v3, 0                                  // 000000009EFC: D2890052 00010103
	s_and_b32 s82, s82, 0xffffff                               // 000000009F04: 8652FF52 00FFFFFF
	s_cmp_lt_u32 s82, s66                                      // 000000009F0C: BF0A4252
	s_cselect_b32 s20, s36, s60                                // 000000009F10: 85143C24
	v_readlane_b32 s82, v3, 1                                  // 000000009F14: D2890052 00010303
	s_and_b32 s82, s82, 0xffffff                               // 000000009F1C: 8652FF52 00FFFFFF
	s_cmp_lt_u32 s82, s66                                      // 000000009F24: BF0A4252
	s_cselect_b32 s21, s36, s60                                // 000000009F28: 85153C24
	s_mov_b64 exec, s[20:21]                                   // 000000009F2C: BEFE0114
	global_atomic_add_f32 v6, v80, s[8:9]                      // 000000009F30: DD348000 00085006
	s_mov_b64 exec, s[36:37]                                   // 000000009F38: BEFE0124
	v_mov_b32_e32 v6, v61                                      // 000000009F3C: 7E0C033D
	s_mov_b64 s[60:61], 0                                      // 000000009F40: BEBC0180
	v_readlane_b32 s82, v3, 2                                  // 000000009F44: D2890052 00010503
	s_and_b32 s82, s82, 0xffffff                               // 000000009F4C: 8652FF52 00FFFFFF
	s_cmp_lt_u32 s82, s66                                      // 000000009F54: BF0A4252
	s_cselect_b32 s20, s36, s60                                // 000000009F58: 85143C24
	v_readlane_b32 s82, v3, 3                                  // 000000009F5C: D2890052 00010703
	s_and_b32 s82, s82, 0xffffff                               // 000000009F64: 8652FF52 00FFFFFF
	s_cmp_lt_u32 s82, s66                                      // 000000009F6C: BF0A4252
	s_cselect_b32 s21, s36, s60                                // 000000009F70: 85153C24
	s_mov_b64 exec, s[20:21]                                   // 000000009F74: BEFE0114
	global_atomic_add_f32 v6, v81, s[8:9]                      // 000000009F78: DD348000 00085106
	s_mov_b64 exec, s[36:37]                                   // 000000009F80: BEFE0124
	v_mov_b32_e32 v6, v62                                      // 000000009F84: 7E0C033E
	s_mov_b64 s[60:61], 0                                      // 000000009F88: BEBC0180
	v_readlane_b32 s82, v3, 4                                  // 000000009F8C: D2890052 00010903
	s_and_b32 s82, s82, 0xffffff                               // 000000009F94: 8652FF52 00FFFFFF
	s_cmp_lt_u32 s82, s66                                      // 000000009F9C: BF0A4252
	s_cselect_b32 s20, s36, s60                                // 000000009FA0: 85143C24
	v_readlane_b32 s82, v3, 5                                  // 000000009FA4: D2890052 00010B03
	s_and_b32 s82, s82, 0xffffff                               // 000000009FAC: 8652FF52 00FFFFFF
	s_cmp_lt_u32 s82, s66                                      // 000000009FB4: BF0A4252
	s_cselect_b32 s21, s36, s60                                // 000000009FB8: 85153C24
	s_mov_b64 exec, s[20:21]                                   // 000000009FBC: BEFE0114
	global_atomic_add_f32 v6, v84, s[8:9]                      // 000000009FC0: DD348000 00085406
	s_mov_b64 exec, s[36:37]                                   // 000000009FC8: BEFE0124
	v_mov_b32_e32 v6, v63                                      // 000000009FCC: 7E0C033F
	s_mov_b64 s[60:61], 0                                      // 000000009FD0: BEBC0180
	v_readlane_b32 s82, v3, 6                                  // 000000009FD4: D2890052 00010D03
	s_and_b32 s82, s82, 0xffffff                               // 000000009FDC: 8652FF52 00FFFFFF
	s_cmp_lt_u32 s82, s66                                      // 000000009FE4: BF0A4252
	s_cselect_b32 s20, s36, s60                                // 000000009FE8: 85143C24
	v_readlane_b32 s82, v3, 7                                  // 000000009FEC: D2890052 00010F03
	s_and_b32 s82, s82, 0xffffff                               // 000000009FF4: 8652FF52 00FFFFFF
	s_cmp_lt_u32 s82, s66                                      // 000000009FFC: BF0A4252
	s_cselect_b32 s21, s36, s60                                // 00000000A000: 85153C24
	s_mov_b64 exec, s[20:21]                                   // 00000000A004: BEFE0114
	global_atomic_add_f32 v6, v85, s[8:9]                      // 00000000A008: DD348000 00085506
	s_mov_b64 exec, s[36:37]                                   // 00000000A010: BEFE0124
	v_mov_b32_e32 v6, v64                                      // 00000000A014: 7E0C0340
	s_mov_b64 s[60:61], 0                                      // 00000000A018: BEBC0180
	v_readlane_b32 s82, v3, 8                                  // 00000000A01C: D2890052 00011103
	s_and_b32 s82, s82, 0xffffff                               // 00000000A024: 8652FF52 00FFFFFF
	s_cmp_lt_u32 s82, s66                                      // 00000000A02C: BF0A4252
	s_cselect_b32 s20, s36, s60                                // 00000000A030: 85143C24
	v_readlane_b32 s82, v3, 9                                  // 00000000A034: D2890052 00011303
	s_and_b32 s82, s82, 0xffffff                               // 00000000A03C: 8652FF52 00FFFFFF
	s_cmp_lt_u32 s82, s66                                      // 00000000A044: BF0A4252
	s_cselect_b32 s21, s36, s60                                // 00000000A048: 85153C24
	s_mov_b64 exec, s[20:21]                                   // 00000000A04C: BEFE0114
	global_atomic_add_f32 v6, v88, s[8:9]                      // 00000000A050: DD348000 00085806
	s_mov_b64 exec, s[36:37]                                   // 00000000A058: BEFE0124
	v_mov_b32_e32 v6, v65                                      // 00000000A05C: 7E0C0341
	s_mov_b64 s[60:61], 0                                      // 00000000A060: BEBC0180
	v_readlane_b32 s82, v3, 10                                 // 00000000A064: D2890052 00011503
	s_and_b32 s82, s82, 0xffffff                               // 00000000A06C: 8652FF52 00FFFFFF
	s_cmp_lt_u32 s82, s66                                      // 00000000A074: BF0A4252
	s_cselect_b32 s20, s36, s60                                // 00000000A078: 85143C24
	v_readlane_b32 s82, v3, 11                                 // 00000000A07C: D2890052 00011703
	s_and_b32 s82, s82, 0xffffff                               // 00000000A084: 8652FF52 00FFFFFF
	s_cmp_lt_u32 s82, s66                                      // 00000000A08C: BF0A4252
	s_cselect_b32 s21, s36, s60                                // 00000000A090: 85153C24
	s_mov_b64 exec, s[20:21]                                   // 00000000A094: BEFE0114
	global_atomic_add_f32 v6, v89, s[8:9]                      // 00000000A098: DD348000 00085906
	s_mov_b64 exec, s[36:37]                                   // 00000000A0A0: BEFE0124
	v_mov_b32_e32 v6, v66                                      // 00000000A0A4: 7E0C0342
	s_mov_b64 s[60:61], 0                                      // 00000000A0A8: BEBC0180
	v_readlane_b32 s82, v3, 12                                 // 00000000A0AC: D2890052 00011903
	s_and_b32 s82, s82, 0xffffff                               // 00000000A0B4: 8652FF52 00FFFFFF
	s_cmp_lt_u32 s82, s66                                      // 00000000A0BC: BF0A4252
	s_cselect_b32 s20, s36, s60                                // 00000000A0C0: 85143C24
	v_readlane_b32 s82, v3, 13                                 // 00000000A0C4: D2890052 00011B03
	s_and_b32 s82, s82, 0xffffff                               // 00000000A0CC: 8652FF52 00FFFFFF
	s_cmp_lt_u32 s82, s66                                      // 00000000A0D4: BF0A4252
	s_cselect_b32 s21, s36, s60                                // 00000000A0D8: 85153C24
	s_mov_b64 exec, s[20:21]                                   // 00000000A0DC: BEFE0114
	global_atomic_add_f32 v6, v92, s[8:9]                      // 00000000A0E0: DD348000 00085C06
	s_mov_b64 exec, s[36:37]                                   // 00000000A0E8: BEFE0124
	v_mov_b32_e32 v6, v67                                      // 00000000A0EC: 7E0C0343
	s_mov_b64 s[60:61], 0                                      // 00000000A0F0: BEBC0180
	v_readlane_b32 s82, v3, 14                                 // 00000000A0F4: D2890052 00011D03
	s_and_b32 s82, s82, 0xffffff                               // 00000000A0FC: 8652FF52 00FFFFFF
	s_cmp_lt_u32 s82, s66                                      // 00000000A104: BF0A4252
	s_cselect_b32 s20, s36, s60                                // 00000000A108: 85143C24
	v_readlane_b32 s82, v3, 15                                 // 00000000A10C: D2890052 00011F03
	s_and_b32 s82, s82, 0xffffff                               // 00000000A114: 8652FF52 00FFFFFF
	s_cmp_lt_u32 s82, s66                                      // 00000000A11C: BF0A4252
	s_cselect_b32 s21, s36, s60                                // 00000000A120: 85153C24
	s_mov_b64 exec, s[20:21]                                   // 00000000A124: BEFE0114
	global_atomic_add_f32 v6, v93, s[8:9]                      // 00000000A128: DD348000 00085D06
	s_mov_b64 exec, s[36:37]                                   // 00000000A130: BEFE0124
	v_mov_b32_e32 v6, v68                                      // 00000000A134: 7E0C0344
	s_mov_b64 s[60:61], 0                                      // 00000000A138: BEBC0180
	v_readlane_b32 s82, v3, 16                                 // 00000000A13C: D2890052 00012103
	s_and_b32 s82, s82, 0xffffff                               // 00000000A144: 8652FF52 00FFFFFF
	s_cmp_lt_u32 s82, s66                                      // 00000000A14C: BF0A4252
	s_cselect_b32 s20, s36, s60                                // 00000000A150: 85143C24
	v_readlane_b32 s82, v3, 17                                 // 00000000A154: D2890052 00012303
	s_and_b32 s82, s82, 0xffffff                               // 00000000A15C: 8652FF52 00FFFFFF
	s_cmp_lt_u32 s82, s66                                      // 00000000A164: BF0A4252
	s_cselect_b32 s21, s36, s60                                // 00000000A168: 85153C24
	s_mov_b64 exec, s[20:21]                                   // 00000000A16C: BEFE0114
	global_atomic_add_f32 v6, v96, s[8:9]                      // 00000000A170: DD348000 00086006
	s_mov_b64 exec, s[36:37]                                   // 00000000A178: BEFE0124
	v_mov_b32_e32 v6, v69                                      // 00000000A17C: 7E0C0345
	s_mov_b64 s[60:61], 0                                      // 00000000A180: BEBC0180
	v_readlane_b32 s82, v3, 18                                 // 00000000A184: D2890052 00012503
	s_and_b32 s82, s82, 0xffffff                               // 00000000A18C: 8652FF52 00FFFFFF
	s_cmp_lt_u32 s82, s66                                      // 00000000A194: BF0A4252
	s_cselect_b32 s20, s36, s60                                // 00000000A198: 85143C24
	v_readlane_b32 s82, v3, 19                                 // 00000000A19C: D2890052 00012703
	s_and_b32 s82, s82, 0xffffff                               // 00000000A1A4: 8652FF52 00FFFFFF
	s_cmp_lt_u32 s82, s66                                      // 00000000A1AC: BF0A4252
	s_cselect_b32 s21, s36, s60                                // 00000000A1B0: 85153C24
	s_mov_b64 exec, s[20:21]                                   // 00000000A1B4: BEFE0114
	global_atomic_add_f32 v6, v97, s[8:9]                      // 00000000A1B8: DD348000 00086106
	s_mov_b64 exec, s[36:37]                                   // 00000000A1C0: BEFE0124
	v_mov_b32_e32 v6, v70                                      // 00000000A1C4: 7E0C0346
	s_mov_b64 s[60:61], 0                                      // 00000000A1C8: BEBC0180
	v_readlane_b32 s82, v3, 20                                 // 00000000A1CC: D2890052 00012903
	s_and_b32 s82, s82, 0xffffff                               // 00000000A1D4: 8652FF52 00FFFFFF
	s_cmp_lt_u32 s82, s66                                      // 00000000A1DC: BF0A4252
	s_cselect_b32 s20, s36, s60                                // 00000000A1E0: 85143C24
	v_readlane_b32 s82, v3, 21                                 // 00000000A1E4: D2890052 00012B03
	s_and_b32 s82, s82, 0xffffff                               // 00000000A1EC: 8652FF52 00FFFFFF
	s_cmp_lt_u32 s82, s66                                      // 00000000A1F4: BF0A4252
	s_cselect_b32 s21, s36, s60                                // 00000000A1F8: 85153C24
	s_mov_b64 exec, s[20:21]                                   // 00000000A1FC: BEFE0114
	global_atomic_add_f32 v6, v100, s[8:9]                     // 00000000A200: DD348000 00086406
	s_mov_b64 exec, s[36:37]                                   // 00000000A208: BEFE0124
	v_mov_b32_e32 v6, v71                                      // 00000000A20C: 7E0C0347
	s_mov_b64 s[60:61], 0                                      // 00000000A210: BEBC0180
	v_readlane_b32 s82, v3, 22                                 // 00000000A214: D2890052 00012D03
	s_and_b32 s82, s82, 0xffffff                               // 00000000A21C: 8652FF52 00FFFFFF
	s_cmp_lt_u32 s82, s66                                      // 00000000A224: BF0A4252
	s_cselect_b32 s20, s36, s60                                // 00000000A228: 85143C24
	v_readlane_b32 s82, v3, 23                                 // 00000000A22C: D2890052 00012F03
	s_and_b32 s82, s82, 0xffffff                               // 00000000A234: 8652FF52 00FFFFFF
	s_cmp_lt_u32 s82, s66                                      // 00000000A23C: BF0A4252
	s_cselect_b32 s21, s36, s60                                // 00000000A240: 85153C24
	s_mov_b64 exec, s[20:21]                                   // 00000000A244: BEFE0114
	global_atomic_add_f32 v6, v101, s[8:9]                     // 00000000A248: DD348000 00086506
	s_mov_b64 exec, s[36:37]                                   // 00000000A250: BEFE0124
	v_mov_b32_e32 v6, v72                                      // 00000000A254: 7E0C0348
	s_mov_b64 s[60:61], 0                                      // 00000000A258: BEBC0180
	v_readlane_b32 s82, v3, 24                                 // 00000000A25C: D2890052 00013103
	s_and_b32 s82, s82, 0xffffff                               // 00000000A264: 8652FF52 00FFFFFF
	s_cmp_lt_u32 s82, s66                                      // 00000000A26C: BF0A4252
	s_cselect_b32 s20, s36, s60                                // 00000000A270: 85143C24
	v_readlane_b32 s82, v3, 25                                 // 00000000A274: D2890052 00013303
	s_and_b32 s82, s82, 0xffffff                               // 00000000A27C: 8652FF52 00FFFFFF
	s_cmp_lt_u32 s82, s66                                      // 00000000A284: BF0A4252
	s_cselect_b32 s21, s36, s60                                // 00000000A288: 85153C24
	s_mov_b64 exec, s[20:21]                                   // 00000000A28C: BEFE0114
	global_atomic_add_f32 v6, v104, s[8:9]                     // 00000000A290: DD348000 00086806
	s_mov_b64 exec, s[36:37]                                   // 00000000A298: BEFE0124
	v_mov_b32_e32 v6, v73                                      // 00000000A29C: 7E0C0349
	s_mov_b64 s[60:61], 0                                      // 00000000A2A0: BEBC0180
	v_readlane_b32 s82, v3, 26                                 // 00000000A2A4: D2890052 00013503
	s_and_b32 s82, s82, 0xffffff                               // 00000000A2AC: 8652FF52 00FFFFFF
	s_cmp_lt_u32 s82, s66                                      // 00000000A2B4: BF0A4252
	s_cselect_b32 s20, s36, s60                                // 00000000A2B8: 85143C24
	v_readlane_b32 s82, v3, 27                                 // 00000000A2BC: D2890052 00013703
	s_and_b32 s82, s82, 0xffffff                               // 00000000A2C4: 8652FF52 00FFFFFF
	s_cmp_lt_u32 s82, s66                                      // 00000000A2CC: BF0A4252
	s_cselect_b32 s21, s36, s60                                // 00000000A2D0: 85153C24
	s_mov_b64 exec, s[20:21]                                   // 00000000A2D4: BEFE0114
	global_atomic_add_f32 v6, v105, s[8:9]                     // 00000000A2D8: DD348000 00086906
	s_mov_b64 exec, s[36:37]                                   // 00000000A2E0: BEFE0124
	v_mov_b32_e32 v6, v74                                      // 00000000A2E4: 7E0C034A
	s_mov_b64 s[60:61], 0                                      // 00000000A2E8: BEBC0180
	v_readlane_b32 s82, v3, 28                                 // 00000000A2EC: D2890052 00013903
	s_and_b32 s82, s82, 0xffffff                               // 00000000A2F4: 8652FF52 00FFFFFF
	s_cmp_lt_u32 s82, s66                                      // 00000000A2FC: BF0A4252
	s_cselect_b32 s20, s36, s60                                // 00000000A300: 85143C24
	v_readlane_b32 s82, v3, 29                                 // 00000000A304: D2890052 00013B03
	s_and_b32 s82, s82, 0xffffff                               // 00000000A30C: 8652FF52 00FFFFFF
	s_cmp_lt_u32 s82, s66                                      // 00000000A314: BF0A4252
	s_cselect_b32 s21, s36, s60                                // 00000000A318: 85153C24
	s_mov_b64 exec, s[20:21]                                   // 00000000A31C: BEFE0114
	global_atomic_add_f32 v6, v108, s[8:9]                     // 00000000A320: DD348000 00086C06
	s_mov_b64 exec, s[36:37]                                   // 00000000A328: BEFE0124
	v_mov_b32_e32 v6, v75                                      // 00000000A32C: 7E0C034B
	s_mov_b64 s[60:61], 0                                      // 00000000A330: BEBC0180
	v_readlane_b32 s82, v3, 30                                 // 00000000A334: D2890052 00013D03
	s_and_b32 s82, s82, 0xffffff                               // 00000000A33C: 8652FF52 00FFFFFF
	s_cmp_lt_u32 s82, s66                                      // 00000000A344: BF0A4252
	s_cselect_b32 s20, s36, s60                                // 00000000A348: 85143C24
	v_readlane_b32 s82, v3, 31                                 // 00000000A34C: D2890052 00013F03
	s_and_b32 s82, s82, 0xffffff                               // 00000000A354: 8652FF52 00FFFFFF
	s_cmp_lt_u32 s82, s66                                      // 00000000A35C: BF0A4252
	s_cselect_b32 s21, s36, s60                                // 00000000A360: 85153C24
	s_mov_b64 exec, s[20:21]                                   // 00000000A364: BEFE0114
	global_atomic_add_f32 v6, v109, s[8:9]                     // 00000000A368: DD348000 00086D06
	s_mov_b64 exec, s[36:37]                                   // 00000000A370: BEFE0124
	ds_write_b64 v20, v[82:83]                                 // 00000000A374: D89A0000 00005214
	ds_write_b64 v20, v[86:87] offset:2176                     // 00000000A37C: D89A0880 00005614
	ds_write_b64 v20, v[90:91] offset:4352                     // 00000000A384: D89A1100 00005A14
	ds_write_b64 v20, v[94:95] offset:6528                     // 00000000A38C: D89A1980 00005E14
	ds_write_b64 v20, v[98:99] offset:8704                     // 00000000A394: D89A2200 00006214
	ds_write_b64 v20, v[102:103] offset:10880                  // 00000000A39C: D89A2A80 00006614
	ds_write_b64 v20, v[106:107] offset:13056                  // 00000000A3A4: D89A3300 00006A14
	ds_write_b64 v20, v[110:111] offset:15232                  // 00000000A3AC: D89A3B80 00006E14
	s_waitcnt lgkmcnt(0)                                       // 00000000A3B4: BF8CC07F
	s_barrier                                                  // 00000000A3B8: BF8A0000
	ds_read_b32 v82, v21                                       // 00000000A3BC: D86C0000 52000015
	ds_read_b32 v83, v21 offset:64                             // 00000000A3C4: D86C0040 53000015
	ds_read_b32 v86, v21 offset:2176                           // 00000000A3CC: D86C0880 56000015
	ds_read_b32 v87, v21 offset:2240                           // 00000000A3D4: D86C08C0 57000015
	ds_read_b32 v90, v21 offset:4352                           // 00000000A3DC: D86C1100 5A000015
	ds_read_b32 v91, v21 offset:4416                           // 00000000A3E4: D86C1140 5B000015
	ds_read_b32 v94, v21 offset:6528                           // 00000000A3EC: D86C1980 5E000015
	ds_read_b32 v95, v21 offset:6592                           // 00000000A3F4: D86C19C0 5F000015
	ds_read_b32 v98, v21 offset:8704                           // 00000000A3FC: D86C2200 62000015
	ds_read_b32 v99, v21 offset:8768                           // 00000000A404: D86C2240 63000015
	ds_read_b32 v102, v21 offset:10880                         // 00000000A40C: D86C2A80 66000015
	ds_read_b32 v103, v21 offset:10944                         // 00000000A414: D86C2AC0 67000015
	ds_read_b32 v106, v21 offset:13056                         // 00000000A41C: D86C3300 6A000015
	ds_read_b32 v107, v21 offset:13120                         // 00000000A424: D86C3340 6B000015
	ds_read_b32 v110, v21 offset:15232                         // 00000000A42C: D86C3B80 6E000015
	ds_read_b32 v111, v21 offset:15296                         // 00000000A434: D86C3BC0 6F000015
	s_waitcnt lgkmcnt(0)                                       // 00000000A43C: BF8CC07F
	v_mov_b32_e32 v7, 0                                        // 00000000A440: 7E0E0280
	s_mov_b64 exec, s[36:37]                                   // 00000000A444: BEFE0124
	v_mov_b32_e32 v6, v60                                      // 00000000A448: 7E0C033C
	s_mov_b64 s[60:61], 0                                      // 00000000A44C: BEBC0180
	v_readlane_b32 s82, v3, 0                                  // 00000000A450: D2890052 00010103
	s_and_b32 s82, s82, 0xffffff                               // 00000000A458: 8652FF52 00FFFFFF
	s_cmp_lt_u32 s82, s66                                      // 00000000A460: BF0A4252
	s_cselect_b32 s20, s36, s60                                // 00000000A464: 85143C24
	v_readlane_b32 s82, v3, 1                                  // 00000000A468: D2890052 00010303
	s_and_b32 s82, s82, 0xffffff                               // 00000000A470: 8652FF52 00FFFFFF
	s_cmp_lt_u32 s82, s66                                      // 00000000A478: BF0A4252
	s_cselect_b32 s21, s36, s60                                // 00000000A47C: 85153C24
	s_mov_b64 exec, s[20:21]                                   // 00000000A480: BEFE0114
	global_atomic_add_f32 v6, v82, s[8:9] offset:8             // 00000000A484: DD348008 00085206
	s_mov_b64 exec, s[36:37]                                   // 00000000A48C: BEFE0124
	v_mov_b32_e32 v6, v61                                      // 00000000A490: 7E0C033D
	s_mov_b64 s[60:61], 0                                      // 00000000A494: BEBC0180
	v_readlane_b32 s82, v3, 2                                  // 00000000A498: D2890052 00010503
	s_and_b32 s82, s82, 0xffffff                               // 00000000A4A0: 8652FF52 00FFFFFF
	s_cmp_lt_u32 s82, s66                                      // 00000000A4A8: BF0A4252
	s_cselect_b32 s20, s36, s60                                // 00000000A4AC: 85143C24
	v_readlane_b32 s82, v3, 3                                  // 00000000A4B0: D2890052 00010703
	s_and_b32 s82, s82, 0xffffff                               // 00000000A4B8: 8652FF52 00FFFFFF
	s_cmp_lt_u32 s82, s66                                      // 00000000A4C0: BF0A4252
	s_cselect_b32 s21, s36, s60                                // 00000000A4C4: 85153C24
	s_mov_b64 exec, s[20:21]                                   // 00000000A4C8: BEFE0114
	global_atomic_add_f32 v6, v83, s[8:9] offset:8             // 00000000A4CC: DD348008 00085306
	s_mov_b64 exec, s[36:37]                                   // 00000000A4D4: BEFE0124
	v_mov_b32_e32 v6, v62                                      // 00000000A4D8: 7E0C033E
	s_mov_b64 s[60:61], 0                                      // 00000000A4DC: BEBC0180
	v_readlane_b32 s82, v3, 4                                  // 00000000A4E0: D2890052 00010903
	s_and_b32 s82, s82, 0xffffff                               // 00000000A4E8: 8652FF52 00FFFFFF
	s_cmp_lt_u32 s82, s66                                      // 00000000A4F0: BF0A4252
	s_cselect_b32 s20, s36, s60                                // 00000000A4F4: 85143C24
	v_readlane_b32 s82, v3, 5                                  // 00000000A4F8: D2890052 00010B03
	s_and_b32 s82, s82, 0xffffff                               // 00000000A500: 8652FF52 00FFFFFF
	s_cmp_lt_u32 s82, s66                                      // 00000000A508: BF0A4252
	s_cselect_b32 s21, s36, s60                                // 00000000A50C: 85153C24
	s_mov_b64 exec, s[20:21]                                   // 00000000A510: BEFE0114
	global_atomic_add_f32 v6, v86, s[8:9] offset:8             // 00000000A514: DD348008 00085606
	s_mov_b64 exec, s[36:37]                                   // 00000000A51C: BEFE0124
	v_mov_b32_e32 v6, v63                                      // 00000000A520: 7E0C033F
	s_mov_b64 s[60:61], 0                                      // 00000000A524: BEBC0180
	v_readlane_b32 s82, v3, 6                                  // 00000000A528: D2890052 00010D03
	s_and_b32 s82, s82, 0xffffff                               // 00000000A530: 8652FF52 00FFFFFF
	s_cmp_lt_u32 s82, s66                                      // 00000000A538: BF0A4252
	s_cselect_b32 s20, s36, s60                                // 00000000A53C: 85143C24
	v_readlane_b32 s82, v3, 7                                  // 00000000A540: D2890052 00010F03
	s_and_b32 s82, s82, 0xffffff                               // 00000000A548: 8652FF52 00FFFFFF
	s_cmp_lt_u32 s82, s66                                      // 00000000A550: BF0A4252
	s_cselect_b32 s21, s36, s60                                // 00000000A554: 85153C24
	s_mov_b64 exec, s[20:21]                                   // 00000000A558: BEFE0114
	global_atomic_add_f32 v6, v87, s[8:9] offset:8             // 00000000A55C: DD348008 00085706
	s_mov_b64 exec, s[36:37]                                   // 00000000A564: BEFE0124
	v_mov_b32_e32 v6, v64                                      // 00000000A568: 7E0C0340
	s_mov_b64 s[60:61], 0                                      // 00000000A56C: BEBC0180
	v_readlane_b32 s82, v3, 8                                  // 00000000A570: D2890052 00011103
	s_and_b32 s82, s82, 0xffffff                               // 00000000A578: 8652FF52 00FFFFFF
	s_cmp_lt_u32 s82, s66                                      // 00000000A580: BF0A4252
	s_cselect_b32 s20, s36, s60                                // 00000000A584: 85143C24
	v_readlane_b32 s82, v3, 9                                  // 00000000A588: D2890052 00011303
	s_and_b32 s82, s82, 0xffffff                               // 00000000A590: 8652FF52 00FFFFFF
	s_cmp_lt_u32 s82, s66                                      // 00000000A598: BF0A4252
	s_cselect_b32 s21, s36, s60                                // 00000000A59C: 85153C24
	s_mov_b64 exec, s[20:21]                                   // 00000000A5A0: BEFE0114
	global_atomic_add_f32 v6, v90, s[8:9] offset:8             // 00000000A5A4: DD348008 00085A06
	s_mov_b64 exec, s[36:37]                                   // 00000000A5AC: BEFE0124
	v_mov_b32_e32 v6, v65                                      // 00000000A5B0: 7E0C0341
	s_mov_b64 s[60:61], 0                                      // 00000000A5B4: BEBC0180
	v_readlane_b32 s82, v3, 10                                 // 00000000A5B8: D2890052 00011503
	s_and_b32 s82, s82, 0xffffff                               // 00000000A5C0: 8652FF52 00FFFFFF
	s_cmp_lt_u32 s82, s66                                      // 00000000A5C8: BF0A4252
	s_cselect_b32 s20, s36, s60                                // 00000000A5CC: 85143C24
	v_readlane_b32 s82, v3, 11                                 // 00000000A5D0: D2890052 00011703
	s_and_b32 s82, s82, 0xffffff                               // 00000000A5D8: 8652FF52 00FFFFFF
	s_cmp_lt_u32 s82, s66                                      // 00000000A5E0: BF0A4252
	s_cselect_b32 s21, s36, s60                                // 00000000A5E4: 85153C24
	s_mov_b64 exec, s[20:21]                                   // 00000000A5E8: BEFE0114
	global_atomic_add_f32 v6, v91, s[8:9] offset:8             // 00000000A5EC: DD348008 00085B06
	s_mov_b64 exec, s[36:37]                                   // 00000000A5F4: BEFE0124
	v_mov_b32_e32 v6, v66                                      // 00000000A5F8: 7E0C0342
	s_mov_b64 s[60:61], 0                                      // 00000000A5FC: BEBC0180
	v_readlane_b32 s82, v3, 12                                 // 00000000A600: D2890052 00011903
	s_and_b32 s82, s82, 0xffffff                               // 00000000A608: 8652FF52 00FFFFFF
	s_cmp_lt_u32 s82, s66                                      // 00000000A610: BF0A4252
	s_cselect_b32 s20, s36, s60                                // 00000000A614: 85143C24
	v_readlane_b32 s82, v3, 13                                 // 00000000A618: D2890052 00011B03
	s_and_b32 s82, s82, 0xffffff                               // 00000000A620: 8652FF52 00FFFFFF
	s_cmp_lt_u32 s82, s66                                      // 00000000A628: BF0A4252
	s_cselect_b32 s21, s36, s60                                // 00000000A62C: 85153C24
	s_mov_b64 exec, s[20:21]                                   // 00000000A630: BEFE0114
	global_atomic_add_f32 v6, v94, s[8:9] offset:8             // 00000000A634: DD348008 00085E06
	s_mov_b64 exec, s[36:37]                                   // 00000000A63C: BEFE0124
	v_mov_b32_e32 v6, v67                                      // 00000000A640: 7E0C0343
	s_mov_b64 s[60:61], 0                                      // 00000000A644: BEBC0180
	v_readlane_b32 s82, v3, 14                                 // 00000000A648: D2890052 00011D03
	s_and_b32 s82, s82, 0xffffff                               // 00000000A650: 8652FF52 00FFFFFF
	s_cmp_lt_u32 s82, s66                                      // 00000000A658: BF0A4252
	s_cselect_b32 s20, s36, s60                                // 00000000A65C: 85143C24
	v_readlane_b32 s82, v3, 15                                 // 00000000A660: D2890052 00011F03
	s_and_b32 s82, s82, 0xffffff                               // 00000000A668: 8652FF52 00FFFFFF
	s_cmp_lt_u32 s82, s66                                      // 00000000A670: BF0A4252
	s_cselect_b32 s21, s36, s60                                // 00000000A674: 85153C24
	s_mov_b64 exec, s[20:21]                                   // 00000000A678: BEFE0114
	global_atomic_add_f32 v6, v95, s[8:9] offset:8             // 00000000A67C: DD348008 00085F06
	s_mov_b64 exec, s[36:37]                                   // 00000000A684: BEFE0124
	v_mov_b32_e32 v6, v68                                      // 00000000A688: 7E0C0344
	s_mov_b64 s[60:61], 0                                      // 00000000A68C: BEBC0180
	v_readlane_b32 s82, v3, 16                                 // 00000000A690: D2890052 00012103
	s_and_b32 s82, s82, 0xffffff                               // 00000000A698: 8652FF52 00FFFFFF
	s_cmp_lt_u32 s82, s66                                      // 00000000A6A0: BF0A4252
	s_cselect_b32 s20, s36, s60                                // 00000000A6A4: 85143C24
	v_readlane_b32 s82, v3, 17                                 // 00000000A6A8: D2890052 00012303
	s_and_b32 s82, s82, 0xffffff                               // 00000000A6B0: 8652FF52 00FFFFFF
	s_cmp_lt_u32 s82, s66                                      // 00000000A6B8: BF0A4252
	s_cselect_b32 s21, s36, s60                                // 00000000A6BC: 85153C24
	s_mov_b64 exec, s[20:21]                                   // 00000000A6C0: BEFE0114
	global_atomic_add_f32 v6, v98, s[8:9] offset:8             // 00000000A6C4: DD348008 00086206
	s_mov_b64 exec, s[36:37]                                   // 00000000A6CC: BEFE0124
	v_mov_b32_e32 v6, v69                                      // 00000000A6D0: 7E0C0345
	s_mov_b64 s[60:61], 0                                      // 00000000A6D4: BEBC0180
	v_readlane_b32 s82, v3, 18                                 // 00000000A6D8: D2890052 00012503
	s_and_b32 s82, s82, 0xffffff                               // 00000000A6E0: 8652FF52 00FFFFFF
	s_cmp_lt_u32 s82, s66                                      // 00000000A6E8: BF0A4252
	s_cselect_b32 s20, s36, s60                                // 00000000A6EC: 85143C24
	v_readlane_b32 s82, v3, 19                                 // 00000000A6F0: D2890052 00012703
	s_and_b32 s82, s82, 0xffffff                               // 00000000A6F8: 8652FF52 00FFFFFF
	s_cmp_lt_u32 s82, s66                                      // 00000000A700: BF0A4252
	s_cselect_b32 s21, s36, s60                                // 00000000A704: 85153C24
	s_mov_b64 exec, s[20:21]                                   // 00000000A708: BEFE0114
	global_atomic_add_f32 v6, v99, s[8:9] offset:8             // 00000000A70C: DD348008 00086306
	s_mov_b64 exec, s[36:37]                                   // 00000000A714: BEFE0124
	v_mov_b32_e32 v6, v70                                      // 00000000A718: 7E0C0346
	s_mov_b64 s[60:61], 0                                      // 00000000A71C: BEBC0180
	v_readlane_b32 s82, v3, 20                                 // 00000000A720: D2890052 00012903
	s_and_b32 s82, s82, 0xffffff                               // 00000000A728: 8652FF52 00FFFFFF
	s_cmp_lt_u32 s82, s66                                      // 00000000A730: BF0A4252
	s_cselect_b32 s20, s36, s60                                // 00000000A734: 85143C24
	v_readlane_b32 s82, v3, 21                                 // 00000000A738: D2890052 00012B03
	s_and_b32 s82, s82, 0xffffff                               // 00000000A740: 8652FF52 00FFFFFF
	s_cmp_lt_u32 s82, s66                                      // 00000000A748: BF0A4252
	s_cselect_b32 s21, s36, s60                                // 00000000A74C: 85153C24
	s_mov_b64 exec, s[20:21]                                   // 00000000A750: BEFE0114
	global_atomic_add_f32 v6, v102, s[8:9] offset:8            // 00000000A754: DD348008 00086606
	s_mov_b64 exec, s[36:37]                                   // 00000000A75C: BEFE0124
	v_mov_b32_e32 v6, v71                                      // 00000000A760: 7E0C0347
	s_mov_b64 s[60:61], 0                                      // 00000000A764: BEBC0180
	v_readlane_b32 s82, v3, 22                                 // 00000000A768: D2890052 00012D03
	s_and_b32 s82, s82, 0xffffff                               // 00000000A770: 8652FF52 00FFFFFF
	s_cmp_lt_u32 s82, s66                                      // 00000000A778: BF0A4252
	s_cselect_b32 s20, s36, s60                                // 00000000A77C: 85143C24
	v_readlane_b32 s82, v3, 23                                 // 00000000A780: D2890052 00012F03
	s_and_b32 s82, s82, 0xffffff                               // 00000000A788: 8652FF52 00FFFFFF
	s_cmp_lt_u32 s82, s66                                      // 00000000A790: BF0A4252
	s_cselect_b32 s21, s36, s60                                // 00000000A794: 85153C24
	s_mov_b64 exec, s[20:21]                                   // 00000000A798: BEFE0114
	global_atomic_add_f32 v6, v103, s[8:9] offset:8            // 00000000A79C: DD348008 00086706
	s_mov_b64 exec, s[36:37]                                   // 00000000A7A4: BEFE0124
	v_mov_b32_e32 v6, v72                                      // 00000000A7A8: 7E0C0348
	s_mov_b64 s[60:61], 0                                      // 00000000A7AC: BEBC0180
	v_readlane_b32 s82, v3, 24                                 // 00000000A7B0: D2890052 00013103
	s_and_b32 s82, s82, 0xffffff                               // 00000000A7B8: 8652FF52 00FFFFFF
	s_cmp_lt_u32 s82, s66                                      // 00000000A7C0: BF0A4252
	s_cselect_b32 s20, s36, s60                                // 00000000A7C4: 85143C24
	v_readlane_b32 s82, v3, 25                                 // 00000000A7C8: D2890052 00013303
	s_and_b32 s82, s82, 0xffffff                               // 00000000A7D0: 8652FF52 00FFFFFF
	s_cmp_lt_u32 s82, s66                                      // 00000000A7D8: BF0A4252
	s_cselect_b32 s21, s36, s60                                // 00000000A7DC: 85153C24
	s_mov_b64 exec, s[20:21]                                   // 00000000A7E0: BEFE0114
	global_atomic_add_f32 v6, v106, s[8:9] offset:8            // 00000000A7E4: DD348008 00086A06
	s_mov_b64 exec, s[36:37]                                   // 00000000A7EC: BEFE0124
	v_mov_b32_e32 v6, v73                                      // 00000000A7F0: 7E0C0349
	s_mov_b64 s[60:61], 0                                      // 00000000A7F4: BEBC0180
	v_readlane_b32 s82, v3, 26                                 // 00000000A7F8: D2890052 00013503
	s_and_b32 s82, s82, 0xffffff                               // 00000000A800: 8652FF52 00FFFFFF
	s_cmp_lt_u32 s82, s66                                      // 00000000A808: BF0A4252
	s_cselect_b32 s20, s36, s60                                // 00000000A80C: 85143C24
	v_readlane_b32 s82, v3, 27                                 // 00000000A810: D2890052 00013703
	s_and_b32 s82, s82, 0xffffff                               // 00000000A818: 8652FF52 00FFFFFF
	s_cmp_lt_u32 s82, s66                                      // 00000000A820: BF0A4252
	s_cselect_b32 s21, s36, s60                                // 00000000A824: 85153C24
	s_mov_b64 exec, s[20:21]                                   // 00000000A828: BEFE0114
	global_atomic_add_f32 v6, v107, s[8:9] offset:8            // 00000000A82C: DD348008 00086B06
	s_mov_b64 exec, s[36:37]                                   // 00000000A834: BEFE0124
	v_mov_b32_e32 v6, v74                                      // 00000000A838: 7E0C034A
	s_mov_b64 s[60:61], 0                                      // 00000000A83C: BEBC0180
	v_readlane_b32 s82, v3, 28                                 // 00000000A840: D2890052 00013903
	s_and_b32 s82, s82, 0xffffff                               // 00000000A848: 8652FF52 00FFFFFF
	s_cmp_lt_u32 s82, s66                                      // 00000000A850: BF0A4252
	s_cselect_b32 s20, s36, s60                                // 00000000A854: 85143C24
	v_readlane_b32 s82, v3, 29                                 // 00000000A858: D2890052 00013B03
	s_and_b32 s82, s82, 0xffffff                               // 00000000A860: 8652FF52 00FFFFFF
	s_cmp_lt_u32 s82, s66                                      // 00000000A868: BF0A4252
	s_cselect_b32 s21, s36, s60                                // 00000000A86C: 85153C24
	s_mov_b64 exec, s[20:21]                                   // 00000000A870: BEFE0114
	global_atomic_add_f32 v6, v110, s[8:9] offset:8            // 00000000A874: DD348008 00086E06
	s_mov_b64 exec, s[36:37]                                   // 00000000A87C: BEFE0124
	v_mov_b32_e32 v6, v75                                      // 00000000A880: 7E0C034B
	s_mov_b64 s[60:61], 0                                      // 00000000A884: BEBC0180
	v_readlane_b32 s82, v3, 30                                 // 00000000A888: D2890052 00013D03
	s_and_b32 s82, s82, 0xffffff                               // 00000000A890: 8652FF52 00FFFFFF
	s_cmp_lt_u32 s82, s66                                      // 00000000A898: BF0A4252
	s_cselect_b32 s20, s36, s60                                // 00000000A89C: 85143C24
	v_readlane_b32 s82, v3, 31                                 // 00000000A8A0: D2890052 00013F03
	s_and_b32 s82, s82, 0xffffff                               // 00000000A8A8: 8652FF52 00FFFFFF
	s_cmp_lt_u32 s82, s66                                      // 00000000A8B0: BF0A4252
	s_cselect_b32 s21, s36, s60                                // 00000000A8B4: 85153C24
	s_mov_b64 exec, s[20:21]                                   // 00000000A8B8: BEFE0114
	global_atomic_add_f32 v6, v111, s[8:9] offset:8            // 00000000A8BC: DD348008 00086F06
	s_mov_b64 exec, s[36:37]                                   // 00000000A8C4: BEFE0124
	ds_write_b64 v20, v[112:113]                               // 00000000A8C8: D89A0000 00007014
	ds_write_b64 v20, v[116:117] offset:2176                   // 00000000A8D0: D89A0880 00007414
	ds_write_b64 v20, v[120:121] offset:4352                   // 00000000A8D8: D89A1100 00007814
	ds_write_b64 v20, v[124:125] offset:6528                   // 00000000A8E0: D89A1980 00007C14
	ds_write_b64 v20, v[128:129] offset:8704                   // 00000000A8E8: D89A2200 00008014
	ds_write_b64 v20, v[132:133] offset:10880                  // 00000000A8F0: D89A2A80 00008414
	ds_write_b64 v20, v[136:137] offset:13056                  // 00000000A8F8: D89A3300 00008814
	ds_write_b64 v20, v[140:141] offset:15232                  // 00000000A900: D89A3B80 00008C14
	s_waitcnt lgkmcnt(0)                                       // 00000000A908: BF8CC07F
	s_barrier                                                  // 00000000A90C: BF8A0000
	ds_read_b32 v112, v21                                      // 00000000A910: D86C0000 70000015
	ds_read_b32 v113, v21 offset:64                            // 00000000A918: D86C0040 71000015
	ds_read_b32 v116, v21 offset:2176                          // 00000000A920: D86C0880 74000015
	ds_read_b32 v117, v21 offset:2240                          // 00000000A928: D86C08C0 75000015
	ds_read_b32 v120, v21 offset:4352                          // 00000000A930: D86C1100 78000015
	ds_read_b32 v121, v21 offset:4416                          // 00000000A938: D86C1140 79000015
	ds_read_b32 v124, v21 offset:6528                          // 00000000A940: D86C1980 7C000015
	ds_read_b32 v125, v21 offset:6592                          // 00000000A948: D86C19C0 7D000015
	ds_read_b32 v128, v21 offset:8704                          // 00000000A950: D86C2200 80000015
	ds_read_b32 v129, v21 offset:8768                          // 00000000A958: D86C2240 81000015
	ds_read_b32 v132, v21 offset:10880                         // 00000000A960: D86C2A80 84000015
	ds_read_b32 v133, v21 offset:10944                         // 00000000A968: D86C2AC0 85000015
	ds_read_b32 v136, v21 offset:13056                         // 00000000A970: D86C3300 88000015
	ds_read_b32 v137, v21 offset:13120                         // 00000000A978: D86C3340 89000015
	ds_read_b32 v140, v21 offset:15232                         // 00000000A980: D86C3B80 8C000015
	ds_read_b32 v141, v21 offset:15296                         // 00000000A988: D86C3BC0 8D000015
	s_mul_i32 s60, s65, 4                                      // 00000000A990: 923C8441
	s_add_u32 s8, s60, s8                                      // 00000000A994: 8008083C
	s_addc_u32 s9, 0, s9                                       // 00000000A998: 82090980
	s_waitcnt lgkmcnt(0)                                       // 00000000A99C: BF8CC07F
	v_mov_b32_e32 v7, 0                                        // 00000000A9A0: 7E0E0280
	s_mov_b64 exec, s[36:37]                                   // 00000000A9A4: BEFE0124
	v_mov_b32_e32 v6, v60                                      // 00000000A9A8: 7E0C033C
	s_mov_b64 s[60:61], 0                                      // 00000000A9AC: BEBC0180
	v_readlane_b32 s82, v3, 0                                  // 00000000A9B0: D2890052 00010103
	s_and_b32 s82, s82, 0xffffff                               // 00000000A9B8: 8652FF52 00FFFFFF
	s_cmp_lt_u32 s82, s66                                      // 00000000A9C0: BF0A4252
	s_cselect_b32 s20, s36, s60                                // 00000000A9C4: 85143C24
	v_readlane_b32 s82, v3, 1                                  // 00000000A9C8: D2890052 00010303
	s_and_b32 s82, s82, 0xffffff                               // 00000000A9D0: 8652FF52 00FFFFFF
	s_cmp_lt_u32 s82, s66                                      // 00000000A9D8: BF0A4252
	s_cselect_b32 s21, s36, s60                                // 00000000A9DC: 85153C24
	s_mov_b64 exec, s[20:21]                                   // 00000000A9E0: BEFE0114
	global_atomic_add_f32 v6, v112, s[8:9]                     // 00000000A9E4: DD348000 00087006
	s_mov_b64 exec, s[36:37]                                   // 00000000A9EC: BEFE0124
	v_mov_b32_e32 v6, v61                                      // 00000000A9F0: 7E0C033D
	s_mov_b64 s[60:61], 0                                      // 00000000A9F4: BEBC0180
	v_readlane_b32 s82, v3, 2                                  // 00000000A9F8: D2890052 00010503
	s_and_b32 s82, s82, 0xffffff                               // 00000000AA00: 8652FF52 00FFFFFF
	s_cmp_lt_u32 s82, s66                                      // 00000000AA08: BF0A4252
	s_cselect_b32 s20, s36, s60                                // 00000000AA0C: 85143C24
	v_readlane_b32 s82, v3, 3                                  // 00000000AA10: D2890052 00010703
	s_and_b32 s82, s82, 0xffffff                               // 00000000AA18: 8652FF52 00FFFFFF
	s_cmp_lt_u32 s82, s66                                      // 00000000AA20: BF0A4252
	s_cselect_b32 s21, s36, s60                                // 00000000AA24: 85153C24
	s_mov_b64 exec, s[20:21]                                   // 00000000AA28: BEFE0114
	global_atomic_add_f32 v6, v113, s[8:9]                     // 00000000AA2C: DD348000 00087106
	s_mov_b64 exec, s[36:37]                                   // 00000000AA34: BEFE0124
	v_mov_b32_e32 v6, v62                                      // 00000000AA38: 7E0C033E
	s_mov_b64 s[60:61], 0                                      // 00000000AA3C: BEBC0180
	v_readlane_b32 s82, v3, 4                                  // 00000000AA40: D2890052 00010903
	s_and_b32 s82, s82, 0xffffff                               // 00000000AA48: 8652FF52 00FFFFFF
	s_cmp_lt_u32 s82, s66                                      // 00000000AA50: BF0A4252
	s_cselect_b32 s20, s36, s60                                // 00000000AA54: 85143C24
	v_readlane_b32 s82, v3, 5                                  // 00000000AA58: D2890052 00010B03
	s_and_b32 s82, s82, 0xffffff                               // 00000000AA60: 8652FF52 00FFFFFF
	s_cmp_lt_u32 s82, s66                                      // 00000000AA68: BF0A4252
	s_cselect_b32 s21, s36, s60                                // 00000000AA6C: 85153C24
	s_mov_b64 exec, s[20:21]                                   // 00000000AA70: BEFE0114
	global_atomic_add_f32 v6, v116, s[8:9]                     // 00000000AA74: DD348000 00087406
	s_mov_b64 exec, s[36:37]                                   // 00000000AA7C: BEFE0124
	v_mov_b32_e32 v6, v63                                      // 00000000AA80: 7E0C033F
	s_mov_b64 s[60:61], 0                                      // 00000000AA84: BEBC0180
	v_readlane_b32 s82, v3, 6                                  // 00000000AA88: D2890052 00010D03
	s_and_b32 s82, s82, 0xffffff                               // 00000000AA90: 8652FF52 00FFFFFF
	s_cmp_lt_u32 s82, s66                                      // 00000000AA98: BF0A4252
	s_cselect_b32 s20, s36, s60                                // 00000000AA9C: 85143C24
	v_readlane_b32 s82, v3, 7                                  // 00000000AAA0: D2890052 00010F03
	s_and_b32 s82, s82, 0xffffff                               // 00000000AAA8: 8652FF52 00FFFFFF
	s_cmp_lt_u32 s82, s66                                      // 00000000AAB0: BF0A4252
	s_cselect_b32 s21, s36, s60                                // 00000000AAB4: 85153C24
	s_mov_b64 exec, s[20:21]                                   // 00000000AAB8: BEFE0114
	global_atomic_add_f32 v6, v117, s[8:9]                     // 00000000AABC: DD348000 00087506
	s_mov_b64 exec, s[36:37]                                   // 00000000AAC4: BEFE0124
	v_mov_b32_e32 v6, v64                                      // 00000000AAC8: 7E0C0340
	s_mov_b64 s[60:61], 0                                      // 00000000AACC: BEBC0180
	v_readlane_b32 s82, v3, 8                                  // 00000000AAD0: D2890052 00011103
	s_and_b32 s82, s82, 0xffffff                               // 00000000AAD8: 8652FF52 00FFFFFF
	s_cmp_lt_u32 s82, s66                                      // 00000000AAE0: BF0A4252
	s_cselect_b32 s20, s36, s60                                // 00000000AAE4: 85143C24
	v_readlane_b32 s82, v3, 9                                  // 00000000AAE8: D2890052 00011303
	s_and_b32 s82, s82, 0xffffff                               // 00000000AAF0: 8652FF52 00FFFFFF
	s_cmp_lt_u32 s82, s66                                      // 00000000AAF8: BF0A4252
	s_cselect_b32 s21, s36, s60                                // 00000000AAFC: 85153C24
	s_mov_b64 exec, s[20:21]                                   // 00000000AB00: BEFE0114
	global_atomic_add_f32 v6, v120, s[8:9]                     // 00000000AB04: DD348000 00087806
	s_mov_b64 exec, s[36:37]                                   // 00000000AB0C: BEFE0124
	v_mov_b32_e32 v6, v65                                      // 00000000AB10: 7E0C0341
	s_mov_b64 s[60:61], 0                                      // 00000000AB14: BEBC0180
	v_readlane_b32 s82, v3, 10                                 // 00000000AB18: D2890052 00011503
	s_and_b32 s82, s82, 0xffffff                               // 00000000AB20: 8652FF52 00FFFFFF
	s_cmp_lt_u32 s82, s66                                      // 00000000AB28: BF0A4252
	s_cselect_b32 s20, s36, s60                                // 00000000AB2C: 85143C24
	v_readlane_b32 s82, v3, 11                                 // 00000000AB30: D2890052 00011703
	s_and_b32 s82, s82, 0xffffff                               // 00000000AB38: 8652FF52 00FFFFFF
	s_cmp_lt_u32 s82, s66                                      // 00000000AB40: BF0A4252
	s_cselect_b32 s21, s36, s60                                // 00000000AB44: 85153C24
	s_mov_b64 exec, s[20:21]                                   // 00000000AB48: BEFE0114
	global_atomic_add_f32 v6, v121, s[8:9]                     // 00000000AB4C: DD348000 00087906
	s_mov_b64 exec, s[36:37]                                   // 00000000AB54: BEFE0124
	v_mov_b32_e32 v6, v66                                      // 00000000AB58: 7E0C0342
	s_mov_b64 s[60:61], 0                                      // 00000000AB5C: BEBC0180
	v_readlane_b32 s82, v3, 12                                 // 00000000AB60: D2890052 00011903
	s_and_b32 s82, s82, 0xffffff                               // 00000000AB68: 8652FF52 00FFFFFF
	s_cmp_lt_u32 s82, s66                                      // 00000000AB70: BF0A4252
	s_cselect_b32 s20, s36, s60                                // 00000000AB74: 85143C24
	v_readlane_b32 s82, v3, 13                                 // 00000000AB78: D2890052 00011B03
	s_and_b32 s82, s82, 0xffffff                               // 00000000AB80: 8652FF52 00FFFFFF
	s_cmp_lt_u32 s82, s66                                      // 00000000AB88: BF0A4252
	s_cselect_b32 s21, s36, s60                                // 00000000AB8C: 85153C24
	s_mov_b64 exec, s[20:21]                                   // 00000000AB90: BEFE0114
	global_atomic_add_f32 v6, v124, s[8:9]                     // 00000000AB94: DD348000 00087C06
	s_mov_b64 exec, s[36:37]                                   // 00000000AB9C: BEFE0124
	v_mov_b32_e32 v6, v67                                      // 00000000ABA0: 7E0C0343
	s_mov_b64 s[60:61], 0                                      // 00000000ABA4: BEBC0180
	v_readlane_b32 s82, v3, 14                                 // 00000000ABA8: D2890052 00011D03
	s_and_b32 s82, s82, 0xffffff                               // 00000000ABB0: 8652FF52 00FFFFFF
	s_cmp_lt_u32 s82, s66                                      // 00000000ABB8: BF0A4252
	s_cselect_b32 s20, s36, s60                                // 00000000ABBC: 85143C24
	v_readlane_b32 s82, v3, 15                                 // 00000000ABC0: D2890052 00011F03
	s_and_b32 s82, s82, 0xffffff                               // 00000000ABC8: 8652FF52 00FFFFFF
	s_cmp_lt_u32 s82, s66                                      // 00000000ABD0: BF0A4252
	s_cselect_b32 s21, s36, s60                                // 00000000ABD4: 85153C24
	s_mov_b64 exec, s[20:21]                                   // 00000000ABD8: BEFE0114
	global_atomic_add_f32 v6, v125, s[8:9]                     // 00000000ABDC: DD348000 00087D06
	s_mov_b64 exec, s[36:37]                                   // 00000000ABE4: BEFE0124
	v_mov_b32_e32 v6, v68                                      // 00000000ABE8: 7E0C0344
	s_mov_b64 s[60:61], 0                                      // 00000000ABEC: BEBC0180
	v_readlane_b32 s82, v3, 16                                 // 00000000ABF0: D2890052 00012103
	s_and_b32 s82, s82, 0xffffff                               // 00000000ABF8: 8652FF52 00FFFFFF
	s_cmp_lt_u32 s82, s66                                      // 00000000AC00: BF0A4252
	s_cselect_b32 s20, s36, s60                                // 00000000AC04: 85143C24
	v_readlane_b32 s82, v3, 17                                 // 00000000AC08: D2890052 00012303
	s_and_b32 s82, s82, 0xffffff                               // 00000000AC10: 8652FF52 00FFFFFF
	s_cmp_lt_u32 s82, s66                                      // 00000000AC18: BF0A4252
	s_cselect_b32 s21, s36, s60                                // 00000000AC1C: 85153C24
	s_mov_b64 exec, s[20:21]                                   // 00000000AC20: BEFE0114
	global_atomic_add_f32 v6, v128, s[8:9]                     // 00000000AC24: DD348000 00088006
	s_mov_b64 exec, s[36:37]                                   // 00000000AC2C: BEFE0124
	v_mov_b32_e32 v6, v69                                      // 00000000AC30: 7E0C0345
	s_mov_b64 s[60:61], 0                                      // 00000000AC34: BEBC0180
	v_readlane_b32 s82, v3, 18                                 // 00000000AC38: D2890052 00012503
	s_and_b32 s82, s82, 0xffffff                               // 00000000AC40: 8652FF52 00FFFFFF
	s_cmp_lt_u32 s82, s66                                      // 00000000AC48: BF0A4252
	s_cselect_b32 s20, s36, s60                                // 00000000AC4C: 85143C24
	v_readlane_b32 s82, v3, 19                                 // 00000000AC50: D2890052 00012703
	s_and_b32 s82, s82, 0xffffff                               // 00000000AC58: 8652FF52 00FFFFFF
	s_cmp_lt_u32 s82, s66                                      // 00000000AC60: BF0A4252
	s_cselect_b32 s21, s36, s60                                // 00000000AC64: 85153C24
	s_mov_b64 exec, s[20:21]                                   // 00000000AC68: BEFE0114
	global_atomic_add_f32 v6, v129, s[8:9]                     // 00000000AC6C: DD348000 00088106
	s_mov_b64 exec, s[36:37]                                   // 00000000AC74: BEFE0124
	v_mov_b32_e32 v6, v70                                      // 00000000AC78: 7E0C0346
	s_mov_b64 s[60:61], 0                                      // 00000000AC7C: BEBC0180
	v_readlane_b32 s82, v3, 20                                 // 00000000AC80: D2890052 00012903
	s_and_b32 s82, s82, 0xffffff                               // 00000000AC88: 8652FF52 00FFFFFF
	s_cmp_lt_u32 s82, s66                                      // 00000000AC90: BF0A4252
	s_cselect_b32 s20, s36, s60                                // 00000000AC94: 85143C24
	v_readlane_b32 s82, v3, 21                                 // 00000000AC98: D2890052 00012B03
	s_and_b32 s82, s82, 0xffffff                               // 00000000ACA0: 8652FF52 00FFFFFF
	s_cmp_lt_u32 s82, s66                                      // 00000000ACA8: BF0A4252
	s_cselect_b32 s21, s36, s60                                // 00000000ACAC: 85153C24
	s_mov_b64 exec, s[20:21]                                   // 00000000ACB0: BEFE0114
	global_atomic_add_f32 v6, v132, s[8:9]                     // 00000000ACB4: DD348000 00088406
	s_mov_b64 exec, s[36:37]                                   // 00000000ACBC: BEFE0124
	v_mov_b32_e32 v6, v71                                      // 00000000ACC0: 7E0C0347
	s_mov_b64 s[60:61], 0                                      // 00000000ACC4: BEBC0180
	v_readlane_b32 s82, v3, 22                                 // 00000000ACC8: D2890052 00012D03
	s_and_b32 s82, s82, 0xffffff                               // 00000000ACD0: 8652FF52 00FFFFFF
	s_cmp_lt_u32 s82, s66                                      // 00000000ACD8: BF0A4252
	s_cselect_b32 s20, s36, s60                                // 00000000ACDC: 85143C24
	v_readlane_b32 s82, v3, 23                                 // 00000000ACE0: D2890052 00012F03
	s_and_b32 s82, s82, 0xffffff                               // 00000000ACE8: 8652FF52 00FFFFFF
	s_cmp_lt_u32 s82, s66                                      // 00000000ACF0: BF0A4252
	s_cselect_b32 s21, s36, s60                                // 00000000ACF4: 85153C24
	s_mov_b64 exec, s[20:21]                                   // 00000000ACF8: BEFE0114
	global_atomic_add_f32 v6, v133, s[8:9]                     // 00000000ACFC: DD348000 00088506
	s_mov_b64 exec, s[36:37]                                   // 00000000AD04: BEFE0124
	v_mov_b32_e32 v6, v72                                      // 00000000AD08: 7E0C0348
	s_mov_b64 s[60:61], 0                                      // 00000000AD0C: BEBC0180
	v_readlane_b32 s82, v3, 24                                 // 00000000AD10: D2890052 00013103
	s_and_b32 s82, s82, 0xffffff                               // 00000000AD18: 8652FF52 00FFFFFF
	s_cmp_lt_u32 s82, s66                                      // 00000000AD20: BF0A4252
	s_cselect_b32 s20, s36, s60                                // 00000000AD24: 85143C24
	v_readlane_b32 s82, v3, 25                                 // 00000000AD28: D2890052 00013303
	s_and_b32 s82, s82, 0xffffff                               // 00000000AD30: 8652FF52 00FFFFFF
	s_cmp_lt_u32 s82, s66                                      // 00000000AD38: BF0A4252
	s_cselect_b32 s21, s36, s60                                // 00000000AD3C: 85153C24
	s_mov_b64 exec, s[20:21]                                   // 00000000AD40: BEFE0114
	global_atomic_add_f32 v6, v136, s[8:9]                     // 00000000AD44: DD348000 00088806
	s_mov_b64 exec, s[36:37]                                   // 00000000AD4C: BEFE0124
	v_mov_b32_e32 v6, v73                                      // 00000000AD50: 7E0C0349
	s_mov_b64 s[60:61], 0                                      // 00000000AD54: BEBC0180
	v_readlane_b32 s82, v3, 26                                 // 00000000AD58: D2890052 00013503
	s_and_b32 s82, s82, 0xffffff                               // 00000000AD60: 8652FF52 00FFFFFF
	s_cmp_lt_u32 s82, s66                                      // 00000000AD68: BF0A4252
	s_cselect_b32 s20, s36, s60                                // 00000000AD6C: 85143C24
	v_readlane_b32 s82, v3, 27                                 // 00000000AD70: D2890052 00013703
	s_and_b32 s82, s82, 0xffffff                               // 00000000AD78: 8652FF52 00FFFFFF
	s_cmp_lt_u32 s82, s66                                      // 00000000AD80: BF0A4252
	s_cselect_b32 s21, s36, s60                                // 00000000AD84: 85153C24
	s_mov_b64 exec, s[20:21]                                   // 00000000AD88: BEFE0114
	global_atomic_add_f32 v6, v137, s[8:9]                     // 00000000AD8C: DD348000 00088906
	s_mov_b64 exec, s[36:37]                                   // 00000000AD94: BEFE0124
	v_mov_b32_e32 v6, v74                                      // 00000000AD98: 7E0C034A
	s_mov_b64 s[60:61], 0                                      // 00000000AD9C: BEBC0180
	v_readlane_b32 s82, v3, 28                                 // 00000000ADA0: D2890052 00013903
	s_and_b32 s82, s82, 0xffffff                               // 00000000ADA8: 8652FF52 00FFFFFF
	s_cmp_lt_u32 s82, s66                                      // 00000000ADB0: BF0A4252
	s_cselect_b32 s20, s36, s60                                // 00000000ADB4: 85143C24
	v_readlane_b32 s82, v3, 29                                 // 00000000ADB8: D2890052 00013B03
	s_and_b32 s82, s82, 0xffffff                               // 00000000ADC0: 8652FF52 00FFFFFF
	s_cmp_lt_u32 s82, s66                                      // 00000000ADC8: BF0A4252
	s_cselect_b32 s21, s36, s60                                // 00000000ADCC: 85153C24
	s_mov_b64 exec, s[20:21]                                   // 00000000ADD0: BEFE0114
	global_atomic_add_f32 v6, v140, s[8:9]                     // 00000000ADD4: DD348000 00088C06
	s_mov_b64 exec, s[36:37]                                   // 00000000ADDC: BEFE0124
	v_mov_b32_e32 v6, v75                                      // 00000000ADE0: 7E0C034B
	s_mov_b64 s[60:61], 0                                      // 00000000ADE4: BEBC0180
	v_readlane_b32 s82, v3, 30                                 // 00000000ADE8: D2890052 00013D03
	s_and_b32 s82, s82, 0xffffff                               // 00000000ADF0: 8652FF52 00FFFFFF
	s_cmp_lt_u32 s82, s66                                      // 00000000ADF8: BF0A4252
	s_cselect_b32 s20, s36, s60                                // 00000000ADFC: 85143C24
	v_readlane_b32 s82, v3, 31                                 // 00000000AE00: D2890052 00013F03
	s_and_b32 s82, s82, 0xffffff                               // 00000000AE08: 8652FF52 00FFFFFF
	s_cmp_lt_u32 s82, s66                                      // 00000000AE10: BF0A4252
	s_cselect_b32 s21, s36, s60                                // 00000000AE14: 85153C24
	s_mov_b64 exec, s[20:21]                                   // 00000000AE18: BEFE0114
	global_atomic_add_f32 v6, v141, s[8:9]                     // 00000000AE1C: DD348000 00088D06
	s_mov_b64 exec, s[36:37]                                   // 00000000AE24: BEFE0124
	ds_write_b64 v20, v[114:115]                               // 00000000AE28: D89A0000 00007214
	ds_write_b64 v20, v[118:119] offset:2176                   // 00000000AE30: D89A0880 00007614
	ds_write_b64 v20, v[122:123] offset:4352                   // 00000000AE38: D89A1100 00007A14
	ds_write_b64 v20, v[126:127] offset:6528                   // 00000000AE40: D89A1980 00007E14
	ds_write_b64 v20, v[130:131] offset:8704                   // 00000000AE48: D89A2200 00008214
	ds_write_b64 v20, v[134:135] offset:10880                  // 00000000AE50: D89A2A80 00008614
	ds_write_b64 v20, v[138:139] offset:13056                  // 00000000AE58: D89A3300 00008A14
	ds_write_b64 v20, v[142:143] offset:15232                  // 00000000AE60: D89A3B80 00008E14
	s_waitcnt lgkmcnt(0)                                       // 00000000AE68: BF8CC07F
	s_barrier                                                  // 00000000AE6C: BF8A0000
	ds_read_b32 v114, v21                                      // 00000000AE70: D86C0000 72000015
	ds_read_b32 v115, v21 offset:64                            // 00000000AE78: D86C0040 73000015
	ds_read_b32 v118, v21 offset:2176                          // 00000000AE80: D86C0880 76000015
	ds_read_b32 v119, v21 offset:2240                          // 00000000AE88: D86C08C0 77000015
	ds_read_b32 v122, v21 offset:4352                          // 00000000AE90: D86C1100 7A000015
	ds_read_b32 v123, v21 offset:4416                          // 00000000AE98: D86C1140 7B000015
	ds_read_b32 v126, v21 offset:6528                          // 00000000AEA0: D86C1980 7E000015
	ds_read_b32 v127, v21 offset:6592                          // 00000000AEA8: D86C19C0 7F000015
	ds_read_b32 v130, v21 offset:8704                          // 00000000AEB0: D86C2200 82000015
	ds_read_b32 v131, v21 offset:8768                          // 00000000AEB8: D86C2240 83000015
	ds_read_b32 v134, v21 offset:10880                         // 00000000AEC0: D86C2A80 86000015
	ds_read_b32 v135, v21 offset:10944                         // 00000000AEC8: D86C2AC0 87000015
	ds_read_b32 v138, v21 offset:13056                         // 00000000AED0: D86C3300 8A000015
	ds_read_b32 v139, v21 offset:13120                         // 00000000AED8: D86C3340 8B000015
	ds_read_b32 v142, v21 offset:15232                         // 00000000AEE0: D86C3B80 8E000015
	ds_read_b32 v143, v21 offset:15296                         // 00000000AEE8: D86C3BC0 8F000015
	s_waitcnt lgkmcnt(0)                                       // 00000000AEF0: BF8CC07F
	v_mov_b32_e32 v7, 0                                        // 00000000AEF4: 7E0E0280
	s_mov_b64 exec, s[36:37]                                   // 00000000AEF8: BEFE0124
	v_mov_b32_e32 v6, v60                                      // 00000000AEFC: 7E0C033C
	s_mov_b64 s[60:61], 0                                      // 00000000AF00: BEBC0180
	v_readlane_b32 s82, v3, 0                                  // 00000000AF04: D2890052 00010103
	s_and_b32 s82, s82, 0xffffff                               // 00000000AF0C: 8652FF52 00FFFFFF
	s_cmp_lt_u32 s82, s66                                      // 00000000AF14: BF0A4252
	s_cselect_b32 s20, s36, s60                                // 00000000AF18: 85143C24
	v_readlane_b32 s82, v3, 1                                  // 00000000AF1C: D2890052 00010303
	s_and_b32 s82, s82, 0xffffff                               // 00000000AF24: 8652FF52 00FFFFFF
	s_cmp_lt_u32 s82, s66                                      // 00000000AF2C: BF0A4252
	s_cselect_b32 s21, s36, s60                                // 00000000AF30: 85153C24
	s_mov_b64 exec, s[20:21]                                   // 00000000AF34: BEFE0114
	global_atomic_add_f32 v6, v114, s[8:9] offset:8            // 00000000AF38: DD348008 00087206
	s_mov_b64 exec, s[36:37]                                   // 00000000AF40: BEFE0124
	v_mov_b32_e32 v6, v61                                      // 00000000AF44: 7E0C033D
	s_mov_b64 s[60:61], 0                                      // 00000000AF48: BEBC0180
	v_readlane_b32 s82, v3, 2                                  // 00000000AF4C: D2890052 00010503
	s_and_b32 s82, s82, 0xffffff                               // 00000000AF54: 8652FF52 00FFFFFF
	s_cmp_lt_u32 s82, s66                                      // 00000000AF5C: BF0A4252
	s_cselect_b32 s20, s36, s60                                // 00000000AF60: 85143C24
	v_readlane_b32 s82, v3, 3                                  // 00000000AF64: D2890052 00010703
	s_and_b32 s82, s82, 0xffffff                               // 00000000AF6C: 8652FF52 00FFFFFF
	s_cmp_lt_u32 s82, s66                                      // 00000000AF74: BF0A4252
	s_cselect_b32 s21, s36, s60                                // 00000000AF78: 85153C24
	s_mov_b64 exec, s[20:21]                                   // 00000000AF7C: BEFE0114
	global_atomic_add_f32 v6, v115, s[8:9] offset:8            // 00000000AF80: DD348008 00087306
	s_mov_b64 exec, s[36:37]                                   // 00000000AF88: BEFE0124
	v_mov_b32_e32 v6, v62                                      // 00000000AF8C: 7E0C033E
	s_mov_b64 s[60:61], 0                                      // 00000000AF90: BEBC0180
	v_readlane_b32 s82, v3, 4                                  // 00000000AF94: D2890052 00010903
	s_and_b32 s82, s82, 0xffffff                               // 00000000AF9C: 8652FF52 00FFFFFF
	s_cmp_lt_u32 s82, s66                                      // 00000000AFA4: BF0A4252
	s_cselect_b32 s20, s36, s60                                // 00000000AFA8: 85143C24
	v_readlane_b32 s82, v3, 5                                  // 00000000AFAC: D2890052 00010B03
	s_and_b32 s82, s82, 0xffffff                               // 00000000AFB4: 8652FF52 00FFFFFF
	s_cmp_lt_u32 s82, s66                                      // 00000000AFBC: BF0A4252
	s_cselect_b32 s21, s36, s60                                // 00000000AFC0: 85153C24
	s_mov_b64 exec, s[20:21]                                   // 00000000AFC4: BEFE0114
	global_atomic_add_f32 v6, v118, s[8:9] offset:8            // 00000000AFC8: DD348008 00087606
	s_mov_b64 exec, s[36:37]                                   // 00000000AFD0: BEFE0124
	v_mov_b32_e32 v6, v63                                      // 00000000AFD4: 7E0C033F
	s_mov_b64 s[60:61], 0                                      // 00000000AFD8: BEBC0180
	v_readlane_b32 s82, v3, 6                                  // 00000000AFDC: D2890052 00010D03
	s_and_b32 s82, s82, 0xffffff                               // 00000000AFE4: 8652FF52 00FFFFFF
	s_cmp_lt_u32 s82, s66                                      // 00000000AFEC: BF0A4252
	s_cselect_b32 s20, s36, s60                                // 00000000AFF0: 85143C24
	v_readlane_b32 s82, v3, 7                                  // 00000000AFF4: D2890052 00010F03
	s_and_b32 s82, s82, 0xffffff                               // 00000000AFFC: 8652FF52 00FFFFFF
	s_cmp_lt_u32 s82, s66                                      // 00000000B004: BF0A4252
	s_cselect_b32 s21, s36, s60                                // 00000000B008: 85153C24
	s_mov_b64 exec, s[20:21]                                   // 00000000B00C: BEFE0114
	global_atomic_add_f32 v6, v119, s[8:9] offset:8            // 00000000B010: DD348008 00087706
	s_mov_b64 exec, s[36:37]                                   // 00000000B018: BEFE0124
	v_mov_b32_e32 v6, v64                                      // 00000000B01C: 7E0C0340
	s_mov_b64 s[60:61], 0                                      // 00000000B020: BEBC0180
	v_readlane_b32 s82, v3, 8                                  // 00000000B024: D2890052 00011103
	s_and_b32 s82, s82, 0xffffff                               // 00000000B02C: 8652FF52 00FFFFFF
	s_cmp_lt_u32 s82, s66                                      // 00000000B034: BF0A4252
	s_cselect_b32 s20, s36, s60                                // 00000000B038: 85143C24
	v_readlane_b32 s82, v3, 9                                  // 00000000B03C: D2890052 00011303
	s_and_b32 s82, s82, 0xffffff                               // 00000000B044: 8652FF52 00FFFFFF
	s_cmp_lt_u32 s82, s66                                      // 00000000B04C: BF0A4252
	s_cselect_b32 s21, s36, s60                                // 00000000B050: 85153C24
	s_mov_b64 exec, s[20:21]                                   // 00000000B054: BEFE0114
	global_atomic_add_f32 v6, v122, s[8:9] offset:8            // 00000000B058: DD348008 00087A06
	s_mov_b64 exec, s[36:37]                                   // 00000000B060: BEFE0124
	v_mov_b32_e32 v6, v65                                      // 00000000B064: 7E0C0341
	s_mov_b64 s[60:61], 0                                      // 00000000B068: BEBC0180
	v_readlane_b32 s82, v3, 10                                 // 00000000B06C: D2890052 00011503
	s_and_b32 s82, s82, 0xffffff                               // 00000000B074: 8652FF52 00FFFFFF
	s_cmp_lt_u32 s82, s66                                      // 00000000B07C: BF0A4252
	s_cselect_b32 s20, s36, s60                                // 00000000B080: 85143C24
	v_readlane_b32 s82, v3, 11                                 // 00000000B084: D2890052 00011703
	s_and_b32 s82, s82, 0xffffff                               // 00000000B08C: 8652FF52 00FFFFFF
	s_cmp_lt_u32 s82, s66                                      // 00000000B094: BF0A4252
	s_cselect_b32 s21, s36, s60                                // 00000000B098: 85153C24
	s_mov_b64 exec, s[20:21]                                   // 00000000B09C: BEFE0114
	global_atomic_add_f32 v6, v123, s[8:9] offset:8            // 00000000B0A0: DD348008 00087B06
	s_mov_b64 exec, s[36:37]                                   // 00000000B0A8: BEFE0124
	v_mov_b32_e32 v6, v66                                      // 00000000B0AC: 7E0C0342
	s_mov_b64 s[60:61], 0                                      // 00000000B0B0: BEBC0180
	v_readlane_b32 s82, v3, 12                                 // 00000000B0B4: D2890052 00011903
	s_and_b32 s82, s82, 0xffffff                               // 00000000B0BC: 8652FF52 00FFFFFF
	s_cmp_lt_u32 s82, s66                                      // 00000000B0C4: BF0A4252
	s_cselect_b32 s20, s36, s60                                // 00000000B0C8: 85143C24
	v_readlane_b32 s82, v3, 13                                 // 00000000B0CC: D2890052 00011B03
	s_and_b32 s82, s82, 0xffffff                               // 00000000B0D4: 8652FF52 00FFFFFF
	s_cmp_lt_u32 s82, s66                                      // 00000000B0DC: BF0A4252
	s_cselect_b32 s21, s36, s60                                // 00000000B0E0: 85153C24
	s_mov_b64 exec, s[20:21]                                   // 00000000B0E4: BEFE0114
	global_atomic_add_f32 v6, v126, s[8:9] offset:8            // 00000000B0E8: DD348008 00087E06
	s_mov_b64 exec, s[36:37]                                   // 00000000B0F0: BEFE0124
	v_mov_b32_e32 v6, v67                                      // 00000000B0F4: 7E0C0343
	s_mov_b64 s[60:61], 0                                      // 00000000B0F8: BEBC0180
	v_readlane_b32 s82, v3, 14                                 // 00000000B0FC: D2890052 00011D03
	s_and_b32 s82, s82, 0xffffff                               // 00000000B104: 8652FF52 00FFFFFF
	s_cmp_lt_u32 s82, s66                                      // 00000000B10C: BF0A4252
	s_cselect_b32 s20, s36, s60                                // 00000000B110: 85143C24
	v_readlane_b32 s82, v3, 15                                 // 00000000B114: D2890052 00011F03
	s_and_b32 s82, s82, 0xffffff                               // 00000000B11C: 8652FF52 00FFFFFF
	s_cmp_lt_u32 s82, s66                                      // 00000000B124: BF0A4252
	s_cselect_b32 s21, s36, s60                                // 00000000B128: 85153C24
	s_mov_b64 exec, s[20:21]                                   // 00000000B12C: BEFE0114
	global_atomic_add_f32 v6, v127, s[8:9] offset:8            // 00000000B130: DD348008 00087F06
	s_mov_b64 exec, s[36:37]                                   // 00000000B138: BEFE0124
	v_mov_b32_e32 v6, v68                                      // 00000000B13C: 7E0C0344
	s_mov_b64 s[60:61], 0                                      // 00000000B140: BEBC0180
	v_readlane_b32 s82, v3, 16                                 // 00000000B144: D2890052 00012103
	s_and_b32 s82, s82, 0xffffff                               // 00000000B14C: 8652FF52 00FFFFFF
	s_cmp_lt_u32 s82, s66                                      // 00000000B154: BF0A4252
	s_cselect_b32 s20, s36, s60                                // 00000000B158: 85143C24
	v_readlane_b32 s82, v3, 17                                 // 00000000B15C: D2890052 00012303
	s_and_b32 s82, s82, 0xffffff                               // 00000000B164: 8652FF52 00FFFFFF
	s_cmp_lt_u32 s82, s66                                      // 00000000B16C: BF0A4252
	s_cselect_b32 s21, s36, s60                                // 00000000B170: 85153C24
	s_mov_b64 exec, s[20:21]                                   // 00000000B174: BEFE0114
	global_atomic_add_f32 v6, v130, s[8:9] offset:8            // 00000000B178: DD348008 00088206
	s_mov_b64 exec, s[36:37]                                   // 00000000B180: BEFE0124
	v_mov_b32_e32 v6, v69                                      // 00000000B184: 7E0C0345
	s_mov_b64 s[60:61], 0                                      // 00000000B188: BEBC0180
	v_readlane_b32 s82, v3, 18                                 // 00000000B18C: D2890052 00012503
	s_and_b32 s82, s82, 0xffffff                               // 00000000B194: 8652FF52 00FFFFFF
	s_cmp_lt_u32 s82, s66                                      // 00000000B19C: BF0A4252
	s_cselect_b32 s20, s36, s60                                // 00000000B1A0: 85143C24
	v_readlane_b32 s82, v3, 19                                 // 00000000B1A4: D2890052 00012703
	s_and_b32 s82, s82, 0xffffff                               // 00000000B1AC: 8652FF52 00FFFFFF
	s_cmp_lt_u32 s82, s66                                      // 00000000B1B4: BF0A4252
	s_cselect_b32 s21, s36, s60                                // 00000000B1B8: 85153C24
	s_mov_b64 exec, s[20:21]                                   // 00000000B1BC: BEFE0114
	global_atomic_add_f32 v6, v131, s[8:9] offset:8            // 00000000B1C0: DD348008 00088306
	s_mov_b64 exec, s[36:37]                                   // 00000000B1C8: BEFE0124
	v_mov_b32_e32 v6, v70                                      // 00000000B1CC: 7E0C0346
	s_mov_b64 s[60:61], 0                                      // 00000000B1D0: BEBC0180
	v_readlane_b32 s82, v3, 20                                 // 00000000B1D4: D2890052 00012903
	s_and_b32 s82, s82, 0xffffff                               // 00000000B1DC: 8652FF52 00FFFFFF
	s_cmp_lt_u32 s82, s66                                      // 00000000B1E4: BF0A4252
	s_cselect_b32 s20, s36, s60                                // 00000000B1E8: 85143C24
	v_readlane_b32 s82, v3, 21                                 // 00000000B1EC: D2890052 00012B03
	s_and_b32 s82, s82, 0xffffff                               // 00000000B1F4: 8652FF52 00FFFFFF
	s_cmp_lt_u32 s82, s66                                      // 00000000B1FC: BF0A4252
	s_cselect_b32 s21, s36, s60                                // 00000000B200: 85153C24
	s_mov_b64 exec, s[20:21]                                   // 00000000B204: BEFE0114
	global_atomic_add_f32 v6, v134, s[8:9] offset:8            // 00000000B208: DD348008 00088606
	s_mov_b64 exec, s[36:37]                                   // 00000000B210: BEFE0124
	v_mov_b32_e32 v6, v71                                      // 00000000B214: 7E0C0347
	s_mov_b64 s[60:61], 0                                      // 00000000B218: BEBC0180
	v_readlane_b32 s82, v3, 22                                 // 00000000B21C: D2890052 00012D03
	s_and_b32 s82, s82, 0xffffff                               // 00000000B224: 8652FF52 00FFFFFF
	s_cmp_lt_u32 s82, s66                                      // 00000000B22C: BF0A4252
	s_cselect_b32 s20, s36, s60                                // 00000000B230: 85143C24
	v_readlane_b32 s82, v3, 23                                 // 00000000B234: D2890052 00012F03
	s_and_b32 s82, s82, 0xffffff                               // 00000000B23C: 8652FF52 00FFFFFF
	s_cmp_lt_u32 s82, s66                                      // 00000000B244: BF0A4252
	s_cselect_b32 s21, s36, s60                                // 00000000B248: 85153C24
	s_mov_b64 exec, s[20:21]                                   // 00000000B24C: BEFE0114
	global_atomic_add_f32 v6, v135, s[8:9] offset:8            // 00000000B250: DD348008 00088706
	s_mov_b64 exec, s[36:37]                                   // 00000000B258: BEFE0124
	v_mov_b32_e32 v6, v72                                      // 00000000B25C: 7E0C0348
	s_mov_b64 s[60:61], 0                                      // 00000000B260: BEBC0180
	v_readlane_b32 s82, v3, 24                                 // 00000000B264: D2890052 00013103
	s_and_b32 s82, s82, 0xffffff                               // 00000000B26C: 8652FF52 00FFFFFF
	s_cmp_lt_u32 s82, s66                                      // 00000000B274: BF0A4252
	s_cselect_b32 s20, s36, s60                                // 00000000B278: 85143C24
	v_readlane_b32 s82, v3, 25                                 // 00000000B27C: D2890052 00013303
	s_and_b32 s82, s82, 0xffffff                               // 00000000B284: 8652FF52 00FFFFFF
	s_cmp_lt_u32 s82, s66                                      // 00000000B28C: BF0A4252
	s_cselect_b32 s21, s36, s60                                // 00000000B290: 85153C24
	s_mov_b64 exec, s[20:21]                                   // 00000000B294: BEFE0114
	global_atomic_add_f32 v6, v138, s[8:9] offset:8            // 00000000B298: DD348008 00088A06
	s_mov_b64 exec, s[36:37]                                   // 00000000B2A0: BEFE0124
	v_mov_b32_e32 v6, v73                                      // 00000000B2A4: 7E0C0349
	s_mov_b64 s[60:61], 0                                      // 00000000B2A8: BEBC0180
	v_readlane_b32 s82, v3, 26                                 // 00000000B2AC: D2890052 00013503
	s_and_b32 s82, s82, 0xffffff                               // 00000000B2B4: 8652FF52 00FFFFFF
	s_cmp_lt_u32 s82, s66                                      // 00000000B2BC: BF0A4252
	s_cselect_b32 s20, s36, s60                                // 00000000B2C0: 85143C24
	v_readlane_b32 s82, v3, 27                                 // 00000000B2C4: D2890052 00013703
	s_and_b32 s82, s82, 0xffffff                               // 00000000B2CC: 8652FF52 00FFFFFF
	s_cmp_lt_u32 s82, s66                                      // 00000000B2D4: BF0A4252
	s_cselect_b32 s21, s36, s60                                // 00000000B2D8: 85153C24
	s_mov_b64 exec, s[20:21]                                   // 00000000B2DC: BEFE0114
	global_atomic_add_f32 v6, v139, s[8:9] offset:8            // 00000000B2E0: DD348008 00088B06
	s_mov_b64 exec, s[36:37]                                   // 00000000B2E8: BEFE0124
	v_mov_b32_e32 v6, v74                                      // 00000000B2EC: 7E0C034A
	s_mov_b64 s[60:61], 0                                      // 00000000B2F0: BEBC0180
	v_readlane_b32 s82, v3, 28                                 // 00000000B2F4: D2890052 00013903
	s_and_b32 s82, s82, 0xffffff                               // 00000000B2FC: 8652FF52 00FFFFFF
	s_cmp_lt_u32 s82, s66                                      // 00000000B304: BF0A4252
	s_cselect_b32 s20, s36, s60                                // 00000000B308: 85143C24
	v_readlane_b32 s82, v3, 29                                 // 00000000B30C: D2890052 00013B03
	s_and_b32 s82, s82, 0xffffff                               // 00000000B314: 8652FF52 00FFFFFF
	s_cmp_lt_u32 s82, s66                                      // 00000000B31C: BF0A4252
	s_cselect_b32 s21, s36, s60                                // 00000000B320: 85153C24
	s_mov_b64 exec, s[20:21]                                   // 00000000B324: BEFE0114
	global_atomic_add_f32 v6, v142, s[8:9] offset:8            // 00000000B328: DD348008 00088E06
	s_mov_b64 exec, s[36:37]                                   // 00000000B330: BEFE0124
	v_mov_b32_e32 v6, v75                                      // 00000000B334: 7E0C034B
	s_mov_b64 s[60:61], 0                                      // 00000000B338: BEBC0180
	v_readlane_b32 s82, v3, 30                                 // 00000000B33C: D2890052 00013D03
	s_and_b32 s82, s82, 0xffffff                               // 00000000B344: 8652FF52 00FFFFFF
	s_cmp_lt_u32 s82, s66                                      // 00000000B34C: BF0A4252
	s_cselect_b32 s20, s36, s60                                // 00000000B350: 85143C24
	v_readlane_b32 s82, v3, 31                                 // 00000000B354: D2890052 00013F03
	s_and_b32 s82, s82, 0xffffff                               // 00000000B35C: 8652FF52 00FFFFFF
	s_cmp_lt_u32 s82, s66                                      // 00000000B364: BF0A4252
	s_cselect_b32 s21, s36, s60                                // 00000000B368: 85153C24
	s_mov_b64 exec, s[20:21]                                   // 00000000B36C: BEFE0114
	global_atomic_add_f32 v6, v143, s[8:9] offset:8            // 00000000B370: DD348008 00088F06
	s_mov_b64 exec, s[36:37]                                   // 00000000B378: BEFE0124
	s_branch label_2263                                        // 00000000B37C: BF820000

000000000000b380 <label_2263>:
	s_waitcnt vmcnt(0) expcnt(0) lgkmcnt(0)                    // 00000000B380: BF8C0000
	s_endpgm                                                   // 00000000B384: BF810000
